;; amdgpu-corpus repo=ROCm/aiter kind=harvested arch=n/a opt=n/a

/root/src/amdgpu-assembly/repos/ROCm__aiter/hsa/gfx942/bf16gemm/bf16gemm_fp32bf16_tn_32x64_bshuffle_splitk_clean.co:	file format elf64-amdgpu

Disassembly of section .text:

0000000000002a00 <_ZN5aiter48bf16gemm_fp32bf16_tn_32x64_bshuffle_splitk_cleanE>:
	s_mov_b32 s53, s4                                          // 000000002A00: BEB50004
	s_and_b32 s1, s1, 0xffff                                   // 000000002A04: 8601FF01 0000FFFF
	s_load_dword s25, s[0:1], 0xe0                             // 000000002A0C: C0020640 000000E0
	s_load_dword s26, s[0:1], 0xf0                             // 000000002A14: C0020680 000000F0
	s_load_dword s27, s[0:1], 0x100                            // 000000002A1C: C00206C0 00000100
	s_load_dword s28, s[0:1], 0xa0                             // 000000002A24: C0020700 000000A0
	s_load_dword s29, s[0:1], 0xc0                             // 000000002A2C: C0020740 000000C0
	s_load_dword s30, s[0:1], 0x80                             // 000000002A34: C0020780 00000080
	s_load_dword s20, s[0:1], 0x40                             // 000000002A3C: C0020500 00000040
	s_load_dword s21, s[0:1], 0x50                             // 000000002A44: C0020540 00000050
	s_load_dwordx2 s[4:5], s[0:1], 0x20                        // 000000002A4C: C0060100 00000020
	s_load_dwordx2 s[8:9], s[0:1], 0x30                        // 000000002A54: C0060200 00000030
	s_load_dwordx2 s[12:13], s[0:1], 0x10                      // 000000002A5C: C0060300 00000010
	s_load_dwordx2 s[16:17], s[0:1], 0x0                       // 000000002A64: C0060400 00000000
	s_load_dword s52, s[0:1], 0x110                            // 000000002A6C: C0020D00 00000110
	s_load_dword s54, s[0:1], 0x120                            // 000000002A74: C0020D80 00000120
	s_load_dwordx2 s[36:37], s[0:1], 0x130                     // 000000002A7C: C0060900 00000130
	s_load_dword s61, s[0:1], 0x140                            // 000000002A84: C0020F40 00000140
	s_load_dwordx2 s[40:41], s[0:1], 0x150                     // 000000002A8C: C0060A00 00000150
	v_lshrrev_b32_e32 v1, 10, v0                               // 000000002A94: 2002008A
	v_lshrrev_b32_e32 v2, 10, v1                               // 000000002A98: 2004028A
	v_and_b32_e32 v2, 0x3ff, v2                                // 000000002A9C: 260404FF 000003FF
	v_and_b32_e32 v1, 0x3ff, v1                                // 000000002AA4: 260202FF 000003FF
	v_and_b32_e32 v0, 0x3ff, v0                                // 000000002AAC: 260000FF 000003FF
	v_lshrrev_b32_e32 v3, 6, v0                                // 000000002AB4: 20060086
	v_and_b32_e32 v0, 63, v0                                   // 000000002AB8: 260000BF
	s_mov_b32 s22, s2                                          // 000000002ABC: BE960002
	s_mov_b32 s23, s3                                          // 000000002AC0: BE970003
	v_readfirstlane_b32 s24, v3                                // 000000002AC4: 7E300503
	s_waitcnt lgkmcnt(0)                                       // 000000002AC8: BF8CC07F
	s_mov_b32 s18, -16                                         // 000000002ACC: BE9200D0
	s_mov_b32 s14, -16                                         // 000000002AD0: BE8E00D0
	s_mov_b32 s10, -16                                         // 000000002AD4: BE8A00D0
	s_mov_b32 s6, -16                                          // 000000002AD8: BE8600D0
	s_mov_b32 s38, -16                                         // 000000002ADC: BEA600D0
	s_mov_b32 s19, 0x20000                                     // 000000002AE0: BE9300FF 00020000
	s_mov_b32 s15, 0x20000                                     // 000000002AE8: BE8F00FF 00020000
	s_mov_b32 s11, 0x20000                                     // 000000002AF0: BE8B00FF 00020000
	s_mov_b32 s7, 0x20000                                      // 000000002AF8: BE8700FF 00020000
	s_mov_b32 s39, 0x20000                                     // 000000002B00: BEA700FF 00020000
	s_and_b32 s17, s17, 0xffff                                 // 000000002B08: 8611FF11 0000FFFF
	s_and_b32 s13, s13, 0xffff                                 // 000000002B10: 860DFF0D 0000FFFF
	s_and_b32 s9, s9, 0xffff                                   // 000000002B18: 8609FF09 0000FFFF
	s_and_b32 s5, s5, 0xffff                                   // 000000002B20: 8605FF05 0000FFFF
	s_and_b32 s37, s37, 0xffff                                 // 000000002B28: 8625FF25 0000FFFF
	s_or_b32 s17, s17, 0x40000                                 // 000000002B30: 8711FF11 00040000
	s_or_b32 s13, s13, 0x40000                                 // 000000002B38: 870DFF0D 00040000
	s_or_b32 s9, s9, 0x40000                                   // 000000002B40: 8709FF09 00040000
	s_or_b32 s5, s5, 0x40000                                   // 000000002B48: 8705FF05 00040000
	s_or_b32 s37, s37, 0x40000                                 // 000000002B50: 8725FF25 00040000
	s_add_u32 s31, s26, 63                                     // 000000002B58: 801FBF1A
	s_lshr_b32 s31, s31, 6                                     // 000000002B5C: 8F1F861F
	s_mul_i32 s62, s23, s31                                    // 000000002B60: 923E1F17
	s_add_u32 s62, s62, s22                                    // 000000002B64: 803E163E
	s_lshl_b32 s62, s62, 2                                     // 000000002B68: 8E3E823E
	s_cmp_eq_u32 s53, 0                                        // 000000002B6C: BF068035
	s_cbranch_scc0 label_005F                                  // 000000002B70: BF840002
	s_load_dword s63, s[40:41], s62 glc                        // 000000002B74: C0010FD4 0000003E

0000000000002b7c <label_005F>:
	s_mov_b32 s35, 0x7060302                                   // 000000002B7C: BEA300FF 07060302
	v_mov_b32_e32 v9, 0xffff0000                               // 000000002B84: 7E1202FF FFFF0000
	v_mov_b32_e32 v10, 0x7fff0000                              // 000000002B8C: 7E1402FF 7FFF0000
	v_mov_b32_e32 v11, 0x7fff                                  // 000000002B94: 7E1602FF 00007FFF
	s_mul_i32 s31, s30, s25                                    // 000000002B9C: 921F191E
	s_mov_b32 s18, s31                                         // 000000002BA0: BE92001F
	s_cmp_lt_u32 s54, 1                                        // 000000002BA4: BF0A8136
	s_cbranch_scc0 label_0085                                  // 000000002BA8: BF84001A
	v_and_b32_e64 v12, v0, 15                                  // 000000002BAC: D113000C 00011F00
	v_mul_lo_u32 v12, v12, s30                                 // 000000002BB4: D285000C 00003D0C
	v_lshrrev_b32_e32 v4, 4, v0                                // 000000002BBC: 20080084
	v_mul_i32_i24_e32 v4, 16, v4                               // 000000002BC0: 0C080890
	v_add_u32_e32 v12, v4, v12                                 // 000000002BC4: 68181904
	s_mul_i32 s31, s23, 32                                     // 000000002BC8: 921FA017
	s_mul_i32 s31, s31, s30                                    // 000000002BCC: 921F1E1F
	v_add_u32_e32 v12, s31, v12                                // 000000002BD0: 6818181F
	s_mul_i32 s31, s22, 64                                     // 000000002BD4: 921FC016
	s_mul_i32 s31, s31, 4                                      // 000000002BD8: 921F841F
	v_add_u32_e32 v12, s31, v12                                // 000000002BDC: 6818181F
	s_mul_i32 s31, 64, s24                                     // 000000002BE0: 921F18C0
	v_add_u32_e32 v12, s31, v12                                // 000000002BE4: 6818181F
	s_mul_i32 s31, 16, s30                                     // 000000002BE8: 921F1E90
	v_add_u32_e32 v13, s31, v12                                // 000000002BEC: 681A181F
	s_mul_i32 s31, s23, 32                                     // 000000002BF0: 921FA017
	s_add_i32 s31, s31, s24                                    // 000000002BF4: 811F181F
	s_mul_i32 s31, s31, s30                                    // 000000002BF8: 921F1E1F
	s_mul_i32 s32, s22, 64                                     // 000000002BFC: 9220C016
	s_mul_i32 s32, s32, 4                                      // 000000002C00: 92208420
	s_add_i32 s31, s31, s32                                    // 000000002C04: 811F201F
	v_lshlrev_b32_e32 v14, 2, v0                               // 000000002C08: 241C0082
	v_add_u32_e32 v14, s31, v14                                // 000000002C0C: 681C1C1F
	s_branch label_00A4                                        // 000000002C10: BF82001F

0000000000002c14 <label_0085>:
	v_and_b32_e64 v12, v0, 15                                  // 000000002C14: D113000C 00011F00
	v_mul_lo_u32 v12, v12, s30                                 // 000000002C1C: D285000C 00003D0C
	v_lshrrev_b32_e32 v4, 4, v0                                // 000000002C24: 20080084
	v_mul_i32_i24_e32 v4, 8, v4                                // 000000002C28: 0C080888
	v_add_u32_e32 v12, v4, v12                                 // 000000002C2C: 68181904
	s_mul_i32 s31, s23, 32                                     // 000000002C30: 921FA017
	s_mul_i32 s31, s31, s30                                    // 000000002C34: 921F1E1F
	v_add_u32_e32 v12, s31, v12                                // 000000002C38: 6818181F
	s_mul_i32 s31, s22, 64                                     // 000000002C3C: 921FC016
	s_mul_i32 s31, s31, 2                                      // 000000002C40: 921F821F
	v_add_u32_e32 v12, s31, v12                                // 000000002C44: 6818181F
	s_mul_i32 s31, 32, s24                                     // 000000002C48: 921F18A0
	v_add_u32_e32 v12, s31, v12                                // 000000002C4C: 6818181F
	s_mul_i32 s31, 16, s30                                     // 000000002C50: 921F1E90
	v_add_u32_e32 v13, s31, v12                                // 000000002C54: 681A181F
	s_mul_i32 s31, s23, 32                                     // 000000002C58: 921FA017
	s_add_i32 s31, s31, s24                                    // 000000002C5C: 811F181F
	s_mul_i32 s31, s31, s30                                    // 000000002C60: 921F1E1F
	s_mul_i32 s32, s22, 64                                     // 000000002C64: 9220C016
	s_mul_i32 s32, s32, 2                                      // 000000002C68: 92208220
	s_add_i32 s31, s31, s32                                    // 000000002C6C: 811F201F
	v_lshrrev_b32_e32 v4, 5, v0                                // 000000002C70: 20080085
	s_mul_i32 s32, s30, 4                                      // 000000002C74: 9220841E
	v_mul_lo_u32 v4, v4, s32                                   // 000000002C78: D2850004 00004104
	v_and_b32_e32 v5, 31, v0                                   // 000000002C80: 260A009F
	v_lshlrev_b32_e32 v5, 2, v5                                // 000000002C84: 240A0A82
	v_add_u32_e32 v14, v4, v5                                  // 000000002C88: 681C0B04
	v_add_u32_e32 v14, s31, v14                                // 000000002C8C: 681C1C1F

0000000000002c90 <label_00A4>:
	s_cmp_eq_u32 s53, 0                                        // 000000002C90: BF068035
	s_cbranch_scc0 label_00BC                                  // 000000002C94: BF840016
	s_mov_b32 s31, 0                                           // 000000002C98: BE9F0080

0000000000002c9c <label_00A7>:
	s_waitcnt lgkmcnt(0)                                       // 000000002C9C: BF8CC07F
	s_cmp_eq_u32 s63, s31                                      // 000000002CA0: BF061F3F
	s_cbranch_scc1 label_00AD                                  // 000000002CA4: BF850003
	s_load_dword s63, s[40:41], s62 glc                        // 000000002CA8: C0010FD4 0000003E
	s_branch label_00A7                                        // 000000002CB0: BF82FFFA

0000000000002cb4 <label_00AD>:
	v_mov_b32_e32 v32, 0                                       // 000000002CB4: 7E400280
	v_mov_b32_e32 v33, 0                                       // 000000002CB8: 7E420280
	v_mov_b32_e32 v34, 0                                       // 000000002CBC: 7E440280
	v_mov_b32_e32 v35, 0                                       // 000000002CC0: 7E460280
	s_cmp_lt_u32 s54, 1                                        // 000000002CC4: BF0A8136
	s_cbranch_scc0 label_00B8                                  // 000000002CC8: BF840005
	buffer_store_dwordx4 v[32:35], v12, s[16:19], 0 offen sc0 nt sc1// 000000002CCC: E07ED000 8004200C
	buffer_store_dwordx4 v[32:35], v13, s[16:19], 0 offen sc0 nt sc1// 000000002CD4: E07ED000 8004200D
	s_branch label_00BC                                        // 000000002CDC: BF820004

0000000000002ce0 <label_00B8>:
	buffer_store_dwordx2 v[32:33], v12, s[16:19], 0 offen sc0 nt sc1// 000000002CE0: E076D000 8004200C
	buffer_store_dwordx2 v[32:33], v13, s[16:19], 0 offen sc0 nt sc1// 000000002CE8: E076D000 8004200D

0000000000002cf0 <label_00BC>:
	s_mul_i32 s31, s28, s25                                    // 000000002CF0: 921F191C
	s_mov_b32 s6, s31                                          // 000000002CF4: BE86001F
	s_mov_b32 s44, 0x80                                        // 000000002CF8: BEAC00FF 00000080
	v_lshrrev_b32_e32 v4, 5, v0                                // 000000002D00: 20080085
	v_lshlrev_b32_e32 v4, 2, v4                                // 000000002D04: 24080882
	v_mul_lo_u32 v15, v4, s28                                  // 000000002D08: D285000F 00003904
	v_and_b32_e32 v4, 31, v0                                   // 000000002D10: 2608009F
	v_lshlrev_b32_e32 v4, 2, v4                                // 000000002D14: 24080882
	v_add_u32_e32 v15, v15, v4                                 // 000000002D18: 681E090F
	s_mul_i32 s31, 8, s28                                      // 000000002D1C: 921F1C88
	v_add_u32_e64 v16, v15, s31                                // 000000002D20: D1340010 00003F0F
	v_add_u32_e64 v17, v16, s31                                // 000000002D28: D1340011 00003F10
	v_add_u32_e64 v18, v17, s31                                // 000000002D30: D1340012 00003F11
	s_mul_i32 s31, s23, 32                                     // 000000002D38: 921FA017
	s_add_u32 s31, s31, s24                                    // 000000002D3C: 801F181F
	s_mul_i32 s32, s31, s28                                    // 000000002D40: 92201C1F
	v_add_u32_e64 v15, v15, s32                                // 000000002D44: D134000F 0000410F
	v_add_u32_e64 v16, v16, s32                                // 000000002D4C: D1340010 00004110
	v_add_u32_e64 v17, v17, s32                                // 000000002D54: D1340011 00004111
	v_add_u32_e64 v18, v18, s32                                // 000000002D5C: D1340012 00004112
	v_lshrrev_b32_e32 v4, 4, v0                                // 000000002D64: 20080084
	v_lshlrev_b32_e32 v5, 2, v4                                // 000000002D68: 240A0882
	v_and_b32_e32 v4, 15, v0                                   // 000000002D6C: 2608008F
	v_lshrrev_b32_e32 v6, 2, v4                                // 000000002D70: 200C0882
	v_lshlrev_b32_e32 v6, 5, v6                                // 000000002D74: 240C0C85
	v_add_u32_e32 v5, v6, v5                                   // 000000002D78: 680A0B06
	v_and_b32_e32 v4, 3, v0                                    // 000000002D7C: 26080083
	v_mul_u32_u24_e32 v6, 0x108, v4                            // 000000002D80: 100C08FF 00000108
	v_add_u32_e32 v5, v6, v5                                   // 000000002D88: 680A0B06
	v_lshlrev_b32_e32 v19, 2, v5                               // 000000002D8C: 24260A82
	s_mul_i32 s31, s24, 0x420                                  // 000000002D90: 921FFF18 00000420
	s_add_u32 s46, 0, s31                                      // 000000002D98: 802E1F80
	s_add_u32 s47, 0x1080, s46                                 // 000000002D9C: 802F2EFF 00001080
	s_add_u32 s48, 0x1080, s47                                 // 000000002DA4: 80302FFF 00001080
	s_mul_i32 s31, s29, s26                                    // 000000002DAC: 921F1A1D
	s_mov_b32 s10, s31                                         // 000000002DB0: BE8A001F
	s_mov_b32 s45, 0x800                                       // 000000002DB4: BEAD00FF 00000800
	v_lshlrev_b32_e32 v20, 4, v0                               // 000000002DBC: 24280084
	s_mov_b32 s31, 0x400                                       // 000000002DC0: BE9F00FF 00000400
	v_add_u32_e64 v21, v20, s31                                // 000000002DC8: D1340015 00003F14
	s_mul_i32 s31, s22, 64                                     // 000000002DD0: 921FC016
	s_mul_i32 s32, 16, s24                                     // 000000002DD4: 92201890
	s_add_u32 s31, s31, s32                                    // 000000002DD8: 801F201F
	s_mul_i32 s32, s31, s29                                    // 000000002DDC: 92201D1F
	v_add_u32_e64 v20, v20, s32                                // 000000002DE0: D1340014 00004114
	v_add_u32_e64 v21, v21, s32                                // 000000002DE8: D1340015 00004115
	s_cmp_le_u32 s52, 1                                        // 000000002DF0: BF0B8134
	s_cbranch_scc1 label_0134                                  // 000000002DF4: BF850036
	s_lshr_b32 s32, s27, 6                                     // 000000002DF8: 8F20861B
	v_cvt_f32_u32_e32 v4, s52                                  // 000000002DFC: 7E080C34
	s_sub_i32 s31, 0, s52                                      // 000000002E00: 819F3480
	v_rcp_iflag_f32_e32 v4, v4                                 // 000000002E04: 7E084704
	s_nop 0                                                    // 000000002E08: BF800000
	v_mul_f32_e32 v4, 0x4f7ffffe, v4                           // 000000002E0C: 0A0808FF 4F7FFFFE
	v_cvt_u32_f32_e32 v4, v4                                   // 000000002E14: 7E080F04
	v_mul_lo_u32 v5, s31, v4                                   // 000000002E18: D2850005 0002081F
	v_mul_hi_u32 v5, v4, v5                                    // 000000002E20: D2860005 00020B04
	v_add_u32_e32 v4, v4, v5                                   // 000000002E28: 68080B04
	v_mul_hi_u32 v4, s32, v4                                   // 000000002E2C: D2860004 00020820
	v_mul_lo_u32 v5, v4, s52                                   // 000000002E34: D2850005 00006904
	v_sub_u32_e32 v7, s32, v5                                  // 000000002E3C: 6A0E0A20
	v_add_u32_e32 v6, 1, v4                                    // 000000002E40: 680C0881
	v_cmp_le_u32_e32 vcc, s52, v7                              // 000000002E44: 7D960E34
	v_subrev_u32_e32 v5, s52, v7                               // 000000002E48: 6C0A0E34
	s_nop 0                                                    // 000000002E4C: BF800000
	v_cndmask_b32_e32 v4, v4, v6, vcc                          // 000000002E50: 00080D04
	v_cndmask_b32_e32 v7, v7, v5, vcc                          // 000000002E54: 000E0B07
	v_add_u32_e32 v5, 1, v4                                    // 000000002E58: 680A0881
	v_cmp_le_u32_e32 vcc, s52, v7                              // 000000002E5C: 7D960E34
	s_nop 1                                                    // 000000002E60: BF800001
	v_cndmask_b32_e32 v7, v4, v5, vcc                          // 000000002E64: 000E0B04
	s_nop 3                                                    // 000000002E68: BF800003
	v_readfirstlane_b32 s32, v7                                // 000000002E6C: 7E400507
	s_nop 3                                                    // 000000002E70: BF800003
	s_mul_i32 s32, s32, 64                                     // 000000002E74: 9220C020
	s_mul_i32 s31, s53, s32                                    // 000000002E78: 921F2035
	s_sub_i32 s56, s27, s31                                    // 000000002E7C: 81B81F1B
	s_sub_i32 s31, s52, 1                                      // 000000002E80: 819F8134
	s_cmp_eq_i32 s53, s31                                      // 000000002E84: BF001F35
	s_cselect_b32 s27, s56, s32                                // 000000002E88: 851B2038
	s_mul_i32 s31, s32, 2                                      // 000000002E8C: 921F8220
	s_mul_i32 s31, s31, s53                                    // 000000002E90: 921F351F
	v_add_u32_e64 v15, v15, s31                                // 000000002E94: D134000F 00003F0F
	v_add_u32_e64 v16, v16, s31                                // 000000002E9C: D1340010 00003F10
	v_add_u32_e64 v17, v17, s31                                // 000000002EA4: D1340011 00003F11
	v_add_u32_e64 v18, v18, s31                                // 000000002EAC: D1340012 00003F12
	s_mul_i32 s31, s32, 2                                      // 000000002EB4: 921F8220
	s_mul_i32 s31, s31, s53                                    // 000000002EB8: 921F351F
	s_mul_i32 s31, s31, 16                                     // 000000002EBC: 921F901F
	v_add_u32_e64 v20, v20, s31                                // 000000002EC0: D1340014 00003F14
	v_add_u32_e64 v21, v21, s31                                // 000000002EC8: D1340015 00003F15

0000000000002ed0 <label_0134>:
	s_cmp_eq_u32 s61, 1                                        // 000000002ED0: BF06813D
	s_cbranch_scc0 label_015F                                  // 000000002ED4: BF840029
	s_cmp_eq_i32 s53, 0                                        // 000000002ED8: BF008035
	s_cbranch_scc0 label_015F                                  // 000000002EDC: BF840027
	s_mul_i32 s31, 2, s26                                      // 000000002EE0: 921F1A82
	s_mov_b32 s38, s31                                         // 000000002EE4: BEA6001F
	v_lshrrev_b32_e32 v4, 4, v0                                // 000000002EE8: 20080084
	v_mul_i32_i24_e32 v36, 8, v4                               // 000000002EEC: 0C480888
	s_mul_i32 s31, 32, s24                                     // 000000002EF0: 921F18A0
	v_add_u32_e32 v36, s31, v36                                // 000000002EF4: 6848481F
	s_mul_i32 s32, s22, 64                                     // 000000002EF8: 9220C016
	s_mul_i32 s32, s32, 2                                      // 000000002EFC: 92208220
	v_add_u32_e32 v36, s32, v36                                // 000000002F00: 68484820
	v_mov_b32_e32 v38, 0                                       // 000000002F04: 7E4C0280
	v_mov_b32_e32 v39, 0                                       // 000000002F08: 7E4E0280
	buffer_load_dwordx2 v[38:39], v36, s[36:39], 0 offen       // 000000002F0C: E0541000 80092624
	s_waitcnt vmcnt(0)                                         // 000000002F14: BF8C0F70
	v_mov_b32_e32 v4, 0xffff0000                               // 000000002F18: 7E0802FF FFFF0000
	v_and_b32_e32 v4, v38, v4                                  // 000000002F20: 26080926
	v_mov_b32_e32 v5, 0xffff                                   // 000000002F24: 7E0A02FF 0000FFFF
	v_and_b32_e32 v5, v38, v5                                  // 000000002F2C: 260A0B26
	v_mov_b32_e32 v41, v4                                      // 000000002F30: 7E520304
	v_lshlrev_b32_e32 v40, 16, v5                              // 000000002F34: 24500A90
	v_mov_b32_e32 v4, 0xffff0000                               // 000000002F38: 7E0802FF FFFF0000
	v_and_b32_e32 v4, v39, v4                                  // 000000002F40: 26080927
	v_mov_b32_e32 v5, 0xffff                                   // 000000002F44: 7E0A02FF 0000FFFF
	v_and_b32_e32 v5, v39, v5                                  // 000000002F4C: 260A0B27
	v_mov_b32_e32 v43, v4                                      // 000000002F50: 7E560304
	v_lshlrev_b32_e32 v42, 16, v5                              // 000000002F54: 24540A90
	v_mov_b32_e32 v24, v40                                     // 000000002F58: 7E300328
	v_mov_b32_e32 v25, v41                                     // 000000002F5C: 7E320329
	v_mov_b32_e32 v26, v42                                     // 000000002F60: 7E34032A
	v_mov_b32_e32 v27, v43                                     // 000000002F64: 7E36032B
	v_mov_b32_e32 v28, v40                                     // 000000002F68: 7E380328
	v_mov_b32_e32 v29, v41                                     // 000000002F6C: 7E3A0329
	v_mov_b32_e32 v30, v42                                     // 000000002F70: 7E3C032A
	v_mov_b32_e32 v31, v43                                     // 000000002F74: 7E3E032B
	s_branch label_0167                                        // 000000002F78: BF820008

0000000000002f7c <label_015F>:
	v_mov_b32_e32 v24, 0                                       // 000000002F7C: 7E300280
	v_mov_b32_e32 v25, 0                                       // 000000002F80: 7E320280
	v_mov_b32_e32 v26, 0                                       // 000000002F84: 7E340280
	v_mov_b32_e32 v27, 0                                       // 000000002F88: 7E360280
	v_mov_b32_e32 v28, 0                                       // 000000002F8C: 7E380280
	v_mov_b32_e32 v29, 0                                       // 000000002F90: 7E3A0280
	v_mov_b32_e32 v30, 0                                       // 000000002F94: 7E3C0280
	v_mov_b32_e32 v31, 0                                       // 000000002F98: 7E3E0280

0000000000002f9c <label_0167>:
	s_add_u32 m0, 0, s46                                       // 000000002F9C: 807C2E80
	buffer_load_dword v15, s[4:7], 0 offen lds                 // 000000002FA0: E0511000 8001000F
	s_add_u32 m0, 0x100, s46                                   // 000000002FA8: 807C2EFF 00000100
	buffer_load_dword v16, s[4:7], 0 offen lds                 // 000000002FB0: E0511000 80010010
	s_add_u32 m0, 0x200, s46                                   // 000000002FB8: 807C2EFF 00000200
	buffer_load_dword v17, s[4:7], 0 offen lds                 // 000000002FC0: E0511000 80010011
	s_add_u32 m0, 0x300, s46                                   // 000000002FC8: 807C2EFF 00000300
	buffer_load_dword v18, s[4:7], 0 offen lds                 // 000000002FD0: E0511000 80010012
	s_add_u32 s4, s44, s4                                      // 000000002FD8: 8004042C
	s_addc_u32 s5, 0, s5                                       // 000000002FDC: 82050580
	s_sub_u32 s6, s6, s44                                      // 000000002FE0: 80862C06
	buffer_load_dwordx4 a[32:35], v20, s[8:11], 0 offen        // 000000002FE4: E05C1000 80822014
	buffer_load_dwordx4 a[36:39], v21, s[8:11], 0 offen        // 000000002FEC: E05C1000 80822415
	s_add_u32 s8, s45, s8                                      // 000000002FF4: 8008082D
	s_addc_u32 s9, 0, s9                                       // 000000002FF8: 82090980
	s_sub_u32 s10, s10, s45                                    // 000000002FFC: 808A2D0A
	s_add_u32 m0, 0, s47                                       // 000000003000: 807C2F80
	buffer_load_dword v15, s[4:7], 0 offen lds                 // 000000003004: E0511000 8001000F
	s_add_u32 m0, 0x100, s47                                   // 00000000300C: 807C2FFF 00000100
	buffer_load_dword v16, s[4:7], 0 offen lds                 // 000000003014: E0511000 80010010
	s_add_u32 m0, 0x200, s47                                   // 00000000301C: 807C2FFF 00000200
	buffer_load_dword v17, s[4:7], 0 offen lds                 // 000000003024: E0511000 80010011
	s_add_u32 m0, 0x300, s47                                   // 00000000302C: 807C2FFF 00000300
	buffer_load_dword v18, s[4:7], 0 offen lds                 // 000000003034: E0511000 80010012
	s_add_u32 s4, s44, s4                                      // 00000000303C: 8004042C
	s_addc_u32 s5, 0, s5                                       // 000000003040: 82050580
	s_sub_u32 s6, s6, s44                                      // 000000003044: 80862C06
	buffer_load_dwordx4 a[40:43], v20, s[8:11], 0 offen        // 000000003048: E05C1000 80822814
	buffer_load_dwordx4 a[44:47], v21, s[8:11], 0 offen        // 000000003050: E05C1000 80822C15
	s_add_u32 s8, s45, s8                                      // 000000003058: 8008082D
	s_addc_u32 s9, 0, s9                                       // 00000000305C: 82090980
	s_sub_u32 s10, s10, s45                                    // 000000003060: 808A2D0A
	s_add_u32 m0, 0, s48                                       // 000000003064: 807C3080
	buffer_load_dword v15, s[4:7], 0 offen lds                 // 000000003068: E0511000 8001000F
	s_add_u32 m0, 0x100, s48                                   // 000000003070: 807C30FF 00000100
	buffer_load_dword v16, s[4:7], 0 offen lds                 // 000000003078: E0511000 80010010
	s_add_u32 m0, 0x200, s48                                   // 000000003080: 807C30FF 00000200
	buffer_load_dword v17, s[4:7], 0 offen lds                 // 000000003088: E0511000 80010011
	;; [unrolled: 2-line block ×3, first 2 shown]
	s_add_u32 s4, s44, s4                                      // 0000000030A0: 8004042C
	s_addc_u32 s5, 0, s5                                       // 0000000030A4: 82050580
	s_sub_u32 s6, s6, s44                                      // 0000000030A8: 80862C06
	s_mov_b32 s34, s27                                         // 0000000030AC: BEA2001B
	s_mov_b32 s33, 0                                           // 0000000030B0: BEA10080
	s_mul_i32 s31, s23, 32                                     // 0000000030B4: 921FA017
	s_sub_i32 s55, s25, s31                                    // 0000000030B8: 81B71F19
	s_waitcnt vmcnt(12)                                        // 0000000030BC: BF8C0F7C
	s_barrier                                                  // 0000000030C0: BF8A0000
	s_or_b32 s31, s53, s24                                     // 0000000030C4: 871F1835
	s_cmp_eq_u32 s31, 0                                        // 0000000030C8: BF06801F
	s_cbranch_scc0 label_01B6                                  // 0000000030CC: BF840002
	s_store_dword s52, s[40:41], s62 glc                       // 0000000030D0: C0410D14 0000003E

00000000000030d8 <label_01B6>:
	ds_read_b128 a[0:3], v19                                   // 0000000030D8: DBFE0000 00000013
	ds_read_b128 a[4:7], v19 offset:64                         // 0000000030E0: DBFE0040 04000013
	ds_read_b128 a[8:11], v19 offset:512                       // 0000000030E8: DBFE0200 08000013
	ds_read_b128 a[12:15], v19 offset:576                      // 0000000030F0: DBFE0240 0C000013
	s_cmp_lt_i32 s24, 2                                        // 0000000030F8: BF048218
	s_cbranch_scc0 label_0329                                  // 0000000030FC: BF840169

0000000000003100 <label_01C0>:
	s_waitcnt vmcnt(6) lgkmcnt(0)                              // 000000003100: BF8C0076
	s_barrier                                                  // 000000003104: BF8A0000
	v_mfma_f32_16x16x16_bf16 v[24:27], a[32:33], a[0:1], v[24:27]// 000000003108: D3E10018 1C620120
	s_add_u32 m0, 0, s46                                       // 000000003110: 807C2E80
	buffer_load_dword v15, s[4:7], 0 offen lds                 // 000000003114: E0511000 8001000F
	v_mfma_f32_16x16x16_bf16 v[24:27], a[34:35], a[2:3], v[24:27]// 00000000311C: D3E10018 1C620522
	s_add_u32 m0, 0x100, s46                                   // 000000003124: 807C2EFF 00000100
	buffer_load_dword v16, s[4:7], 0 offen lds                 // 00000000312C: E0511000 80010010
	ds_read_b128 a[16:19], v19 offset:4224                     // 000000003134: DBFE1080 10000013
	ds_read_b128 a[20:23], v19 offset:4288                     // 00000000313C: DBFE10C0 14000013
	v_mfma_f32_16x16x16_bf16 v[24:27], a[36:37], a[4:5], v[24:27]// 000000003144: D3E10018 1C620924
	s_add_u32 m0, 0x200, s46                                   // 00000000314C: 807C2EFF 00000200
	buffer_load_dword v17, s[4:7], 0 offen lds                 // 000000003154: E0511000 80010011
	v_mfma_f32_16x16x16_bf16 v[24:27], a[38:39], a[6:7], v[24:27]// 00000000315C: D3E10018 1C620D26
	s_add_u32 m0, 0x300, s46                                   // 000000003164: 807C2EFF 00000300
	buffer_load_dword v18, s[4:7], 0 offen lds                 // 00000000316C: E0511000 80010012
	ds_read_b128 a[24:27], v19 offset:4736                     // 000000003174: DBFE1280 18000013
	ds_read_b128 a[28:31], v19 offset:4800                     // 00000000317C: DBFE12C0 1C000013
	v_mfma_f32_16x16x16_bf16 v[28:31], a[32:33], a[8:9], v[28:31]// 000000003184: D3E1001C 1C721120
	s_add_u32 s31, 0x100, s33                                  // 00000000318C: 801F21FF 00000100
	s_cmp_lt_u32 s31, s34                                      // 000000003194: BF0A221F
	s_cselect_b32 s44, s44, 0                                  // 000000003198: 852C802C
	buffer_load_dwordx4 a[48:51], v20, s[8:11], 0 offen        // 00000000319C: E05C1000 80823014
	v_mfma_f32_16x16x16_bf16 v[28:31], a[34:35], a[10:11], v[28:31]// 0000000031A4: D3E1001C 1C721522
	buffer_load_dwordx4 a[52:55], v21, s[8:11], 0 offen        // 0000000031AC: E05C1000 80823415
	s_add_u32 s4, s44, s4                                      // 0000000031B4: 8004042C
	s_addc_u32 s5, 0, s5                                       // 0000000031B8: 82050580
	v_mfma_f32_16x16x16_bf16 v[28:31], a[36:37], a[12:13], v[28:31]// 0000000031BC: D3E1001C 1C721924
	s_add_u32 s31, 0xc0, s33                                   // 0000000031C4: 801F21FF 000000C0
	s_cmp_lt_u32 s31, s34                                      // 0000000031CC: BF0A221F
	s_cselect_b32 s45, s45, 0                                  // 0000000031D0: 852D802D
	v_mfma_f32_16x16x16_bf16 v[28:31], a[38:39], a[14:15], v[28:31]// 0000000031D4: D3E1001C 1C721D26
	s_add_u32 s8, s45, s8                                      // 0000000031DC: 8008082D
	s_addc_u32 s9, 0, s9                                       // 0000000031E0: 82090980
	s_addk_i32 s33, 0x40                                       // 0000000031E4: B7210040
	s_cmp_lt_i32 s33, s34                                      // 0000000031E8: BF042221
	s_cbranch_scc0 label_0492                                  // 0000000031EC: BF840296
	s_waitcnt vmcnt(6) lgkmcnt(0)                              // 0000000031F0: BF8C0076
	s_barrier                                                  // 0000000031F4: BF8A0000
	v_mfma_f32_16x16x16_bf16 v[24:27], a[40:41], a[16:17], v[24:27]// 0000000031F8: D3E10018 1C622128
	s_add_u32 m0, 0, s47                                       // 000000003200: 807C2F80
	buffer_load_dword v15, s[4:7], 0 offen lds                 // 000000003204: E0511000 8001000F
	v_mfma_f32_16x16x16_bf16 v[24:27], a[42:43], a[18:19], v[24:27]// 00000000320C: D3E10018 1C62252A
	s_add_u32 m0, 0x100, s47                                   // 000000003214: 807C2FFF 00000100
	buffer_load_dword v16, s[4:7], 0 offen lds                 // 00000000321C: E0511000 80010010
	ds_read_b128 a[0:3], v19 offset:8448                       // 000000003224: DBFE2100 00000013
	ds_read_b128 a[4:7], v19 offset:8512                       // 00000000322C: DBFE2140 04000013
	v_mfma_f32_16x16x16_bf16 v[24:27], a[44:45], a[20:21], v[24:27]// 000000003234: D3E10018 1C62292C
	s_add_u32 m0, 0x200, s47                                   // 00000000323C: 807C2FFF 00000200
	buffer_load_dword v17, s[4:7], 0 offen lds                 // 000000003244: E0511000 80010011
	v_mfma_f32_16x16x16_bf16 v[24:27], a[46:47], a[22:23], v[24:27]// 00000000324C: D3E10018 1C622D2E
	s_add_u32 m0, 0x300, s47                                   // 000000003254: 807C2FFF 00000300
	buffer_load_dword v18, s[4:7], 0 offen lds                 // 00000000325C: E0511000 80010012
	ds_read_b128 a[8:11], v19 offset:8960                      // 000000003264: DBFE2300 08000013
	ds_read_b128 a[12:15], v19 offset:9024                     // 00000000326C: DBFE2340 0C000013
	v_mfma_f32_16x16x16_bf16 v[28:31], a[40:41], a[24:25], v[28:31]// 000000003274: D3E1001C 1C723128
	s_add_u32 s31, 0x100, s33                                  // 00000000327C: 801F21FF 00000100
	s_cmp_lt_u32 s31, s34                                      // 000000003284: BF0A221F
	s_cselect_b32 s44, s44, 0                                  // 000000003288: 852C802C
	buffer_load_dwordx4 a[32:35], v20, s[8:11], 0 offen        // 00000000328C: E05C1000 80822014
	v_mfma_f32_16x16x16_bf16 v[28:31], a[42:43], a[26:27], v[28:31]// 000000003294: D3E1001C 1C72352A
	buffer_load_dwordx4 a[36:39], v21, s[8:11], 0 offen        // 00000000329C: E05C1000 80822415
	s_add_u32 s4, s44, s4                                      // 0000000032A4: 8004042C
	s_addc_u32 s5, 0, s5                                       // 0000000032A8: 82050580
	v_mfma_f32_16x16x16_bf16 v[28:31], a[44:45], a[28:29], v[28:31]// 0000000032AC: D3E1001C 1C72392C
	s_add_u32 s31, 0xc0, s33                                   // 0000000032B4: 801F21FF 000000C0
	s_cmp_lt_u32 s31, s34                                      // 0000000032BC: BF0A221F
	s_cselect_b32 s45, s45, 0                                  // 0000000032C0: 852D802D
	v_mfma_f32_16x16x16_bf16 v[28:31], a[46:47], a[30:31], v[28:31]// 0000000032C4: D3E1001C 1C723D2E
	s_add_u32 s8, s45, s8                                      // 0000000032CC: 8008082D
	s_addc_u32 s9, 0, s9                                       // 0000000032D0: 82090980
	s_addk_i32 s33, 0x40                                       // 0000000032D4: B7210040
	s_cmp_lt_i32 s33, s34                                      // 0000000032D8: BF042221
	s_cbranch_scc0 label_0492                                  // 0000000032DC: BF84025A
	s_waitcnt vmcnt(6) lgkmcnt(0)                              // 0000000032E0: BF8C0076
	s_barrier                                                  // 0000000032E4: BF8A0000
	v_mfma_f32_16x16x16_bf16 v[24:27], a[48:49], a[0:1], v[24:27]// 0000000032E8: D3E10018 1C620130
	s_add_u32 m0, 0, s48                                       // 0000000032F0: 807C3080
	buffer_load_dword v15, s[4:7], 0 offen lds                 // 0000000032F4: E0511000 8001000F
	v_mfma_f32_16x16x16_bf16 v[24:27], a[50:51], a[2:3], v[24:27]// 0000000032FC: D3E10018 1C620532
	s_add_u32 m0, 0x100, s48                                   // 000000003304: 807C30FF 00000100
	buffer_load_dword v16, s[4:7], 0 offen lds                 // 00000000330C: E0511000 80010010
	ds_read_b128 a[16:19], v19                                 // 000000003314: DBFE0000 10000013
	ds_read_b128 a[20:23], v19 offset:64                       // 00000000331C: DBFE0040 14000013
	v_mfma_f32_16x16x16_bf16 v[24:27], a[52:53], a[4:5], v[24:27]// 000000003324: D3E10018 1C620934
	s_add_u32 m0, 0x200, s48                                   // 00000000332C: 807C30FF 00000200
	buffer_load_dword v17, s[4:7], 0 offen lds                 // 000000003334: E0511000 80010011
	v_mfma_f32_16x16x16_bf16 v[24:27], a[54:55], a[6:7], v[24:27]// 00000000333C: D3E10018 1C620D36
	s_add_u32 m0, 0x300, s48                                   // 000000003344: 807C30FF 00000300
	buffer_load_dword v18, s[4:7], 0 offen lds                 // 00000000334C: E0511000 80010012
	ds_read_b128 a[24:27], v19 offset:512                      // 000000003354: DBFE0200 18000013
	ds_read_b128 a[28:31], v19 offset:576                      // 00000000335C: DBFE0240 1C000013
	v_mfma_f32_16x16x16_bf16 v[28:31], a[48:49], a[8:9], v[28:31]// 000000003364: D3E1001C 1C721130
	s_add_u32 s31, 0x100, s33                                  // 00000000336C: 801F21FF 00000100
	s_cmp_lt_u32 s31, s34                                      // 000000003374: BF0A221F
	s_cselect_b32 s44, s44, 0                                  // 000000003378: 852C802C
	buffer_load_dwordx4 a[40:43], v20, s[8:11], 0 offen        // 00000000337C: E05C1000 80822814
	v_mfma_f32_16x16x16_bf16 v[28:31], a[50:51], a[10:11], v[28:31]// 000000003384: D3E1001C 1C721532
	buffer_load_dwordx4 a[44:47], v21, s[8:11], 0 offen        // 00000000338C: E05C1000 80822C15
	s_add_u32 s4, s44, s4                                      // 000000003394: 8004042C
	s_addc_u32 s5, 0, s5                                       // 000000003398: 82050580
	v_mfma_f32_16x16x16_bf16 v[28:31], a[52:53], a[12:13], v[28:31]// 00000000339C: D3E1001C 1C721934
	s_add_u32 s31, 0xc0, s33                                   // 0000000033A4: 801F21FF 000000C0
	s_cmp_lt_u32 s31, s34                                      // 0000000033AC: BF0A221F
	s_cselect_b32 s45, s45, 0                                  // 0000000033B0: 852D802D
	v_mfma_f32_16x16x16_bf16 v[28:31], a[54:55], a[14:15], v[28:31]// 0000000033B4: D3E1001C 1C721D36
	s_add_u32 s8, s45, s8                                      // 0000000033BC: 8008082D
	s_addc_u32 s9, 0, s9                                       // 0000000033C0: 82090980
	s_addk_i32 s33, 0x40                                       // 0000000033C4: B7210040
	s_cmp_lt_i32 s33, s34                                      // 0000000033C8: BF042221
	s_cbranch_scc0 label_0492                                  // 0000000033CC: BF84021E
	s_waitcnt vmcnt(6) lgkmcnt(0)                              // 0000000033D0: BF8C0076
	s_barrier                                                  // 0000000033D4: BF8A0000
	v_mfma_f32_16x16x16_bf16 v[24:27], a[32:33], a[16:17], v[24:27]// 0000000033D8: D3E10018 1C622120
	s_add_u32 m0, 0, s46                                       // 0000000033E0: 807C2E80
	buffer_load_dword v15, s[4:7], 0 offen lds                 // 0000000033E4: E0511000 8001000F
	v_mfma_f32_16x16x16_bf16 v[24:27], a[34:35], a[18:19], v[24:27]// 0000000033EC: D3E10018 1C622522
	s_add_u32 m0, 0x100, s46                                   // 0000000033F4: 807C2EFF 00000100
	buffer_load_dword v16, s[4:7], 0 offen lds                 // 0000000033FC: E0511000 80010010
	ds_read_b128 a[0:3], v19 offset:4224                       // 000000003404: DBFE1080 00000013
	ds_read_b128 a[4:7], v19 offset:4288                       // 00000000340C: DBFE10C0 04000013
	v_mfma_f32_16x16x16_bf16 v[24:27], a[36:37], a[20:21], v[24:27]// 000000003414: D3E10018 1C622924
	s_add_u32 m0, 0x200, s46                                   // 00000000341C: 807C2EFF 00000200
	buffer_load_dword v17, s[4:7], 0 offen lds                 // 000000003424: E0511000 80010011
	v_mfma_f32_16x16x16_bf16 v[24:27], a[38:39], a[22:23], v[24:27]// 00000000342C: D3E10018 1C622D26
	s_add_u32 m0, 0x300, s46                                   // 000000003434: 807C2EFF 00000300
	buffer_load_dword v18, s[4:7], 0 offen lds                 // 00000000343C: E0511000 80010012
	ds_read_b128 a[8:11], v19 offset:4736                      // 000000003444: DBFE1280 08000013
	ds_read_b128 a[12:15], v19 offset:4800                     // 00000000344C: DBFE12C0 0C000013
	v_mfma_f32_16x16x16_bf16 v[28:31], a[32:33], a[24:25], v[28:31]// 000000003454: D3E1001C 1C723120
	s_add_u32 s31, 0x100, s33                                  // 00000000345C: 801F21FF 00000100
	s_cmp_lt_u32 s31, s34                                      // 000000003464: BF0A221F
	s_cselect_b32 s44, s44, 0                                  // 000000003468: 852C802C
	buffer_load_dwordx4 a[48:51], v20, s[8:11], 0 offen        // 00000000346C: E05C1000 80823014
	v_mfma_f32_16x16x16_bf16 v[28:31], a[34:35], a[26:27], v[28:31]// 000000003474: D3E1001C 1C723522
	buffer_load_dwordx4 a[52:55], v21, s[8:11], 0 offen        // 00000000347C: E05C1000 80823415
	s_add_u32 s4, s44, s4                                      // 000000003484: 8004042C
	s_addc_u32 s5, 0, s5                                       // 000000003488: 82050580
	v_mfma_f32_16x16x16_bf16 v[28:31], a[36:37], a[28:29], v[28:31]// 00000000348C: D3E1001C 1C723924
	s_add_u32 s31, 0xc0, s33                                   // 000000003494: 801F21FF 000000C0
	s_cmp_lt_u32 s31, s34                                      // 00000000349C: BF0A221F
	s_cselect_b32 s45, s45, 0                                  // 0000000034A0: 852D802D
	v_mfma_f32_16x16x16_bf16 v[28:31], a[38:39], a[30:31], v[28:31]// 0000000034A4: D3E1001C 1C723D26
	s_add_u32 s8, s45, s8                                      // 0000000034AC: 8008082D
	s_addc_u32 s9, 0, s9                                       // 0000000034B0: 82090980
	s_addk_i32 s33, 0x40                                       // 0000000034B4: B7210040
	s_cmp_lt_i32 s33, s34                                      // 0000000034B8: BF042221
	s_cbranch_scc0 label_0492                                  // 0000000034BC: BF8401E2
	s_waitcnt vmcnt(6) lgkmcnt(0)                              // 0000000034C0: BF8C0076
	s_barrier                                                  // 0000000034C4: BF8A0000
	v_mfma_f32_16x16x16_bf16 v[24:27], a[40:41], a[0:1], v[24:27]// 0000000034C8: D3E10018 1C620128
	s_add_u32 m0, 0, s47                                       // 0000000034D0: 807C2F80
	buffer_load_dword v15, s[4:7], 0 offen lds                 // 0000000034D4: E0511000 8001000F
	v_mfma_f32_16x16x16_bf16 v[24:27], a[42:43], a[2:3], v[24:27]// 0000000034DC: D3E10018 1C62052A
	s_add_u32 m0, 0x100, s47                                   // 0000000034E4: 807C2FFF 00000100
	buffer_load_dword v16, s[4:7], 0 offen lds                 // 0000000034EC: E0511000 80010010
	ds_read_b128 a[16:19], v19 offset:8448                     // 0000000034F4: DBFE2100 10000013
	ds_read_b128 a[20:23], v19 offset:8512                     // 0000000034FC: DBFE2140 14000013
	v_mfma_f32_16x16x16_bf16 v[24:27], a[44:45], a[4:5], v[24:27]// 000000003504: D3E10018 1C62092C
	s_add_u32 m0, 0x200, s47                                   // 00000000350C: 807C2FFF 00000200
	buffer_load_dword v17, s[4:7], 0 offen lds                 // 000000003514: E0511000 80010011
	v_mfma_f32_16x16x16_bf16 v[24:27], a[46:47], a[6:7], v[24:27]// 00000000351C: D3E10018 1C620D2E
	s_add_u32 m0, 0x300, s47                                   // 000000003524: 807C2FFF 00000300
	buffer_load_dword v18, s[4:7], 0 offen lds                 // 00000000352C: E0511000 80010012
	ds_read_b128 a[24:27], v19 offset:8960                     // 000000003534: DBFE2300 18000013
	ds_read_b128 a[28:31], v19 offset:9024                     // 00000000353C: DBFE2340 1C000013
	v_mfma_f32_16x16x16_bf16 v[28:31], a[40:41], a[8:9], v[28:31]// 000000003544: D3E1001C 1C721128
	s_add_u32 s31, 0x100, s33                                  // 00000000354C: 801F21FF 00000100
	s_cmp_lt_u32 s31, s34                                      // 000000003554: BF0A221F
	s_cselect_b32 s44, s44, 0                                  // 000000003558: 852C802C
	buffer_load_dwordx4 a[32:35], v20, s[8:11], 0 offen        // 00000000355C: E05C1000 80822014
	v_mfma_f32_16x16x16_bf16 v[28:31], a[42:43], a[10:11], v[28:31]// 000000003564: D3E1001C 1C72152A
	buffer_load_dwordx4 a[36:39], v21, s[8:11], 0 offen        // 00000000356C: E05C1000 80822415
	s_add_u32 s4, s44, s4                                      // 000000003574: 8004042C
	s_addc_u32 s5, 0, s5                                       // 000000003578: 82050580
	v_mfma_f32_16x16x16_bf16 v[28:31], a[44:45], a[12:13], v[28:31]// 00000000357C: D3E1001C 1C72192C
	s_add_u32 s31, 0xc0, s33                                   // 000000003584: 801F21FF 000000C0
	s_cmp_lt_u32 s31, s34                                      // 00000000358C: BF0A221F
	s_cselect_b32 s45, s45, 0                                  // 000000003590: 852D802D
	v_mfma_f32_16x16x16_bf16 v[28:31], a[46:47], a[14:15], v[28:31]// 000000003594: D3E1001C 1C721D2E
	s_add_u32 s8, s45, s8                                      // 00000000359C: 8008082D
	s_addc_u32 s9, 0, s9                                       // 0000000035A0: 82090980
	s_addk_i32 s33, 0x40                                       // 0000000035A4: B7210040
	s_cmp_lt_i32 s33, s34                                      // 0000000035A8: BF042221
	s_cbranch_scc0 label_0492                                  // 0000000035AC: BF8401A6
	s_waitcnt vmcnt(6) lgkmcnt(0)                              // 0000000035B0: BF8C0076
	s_barrier                                                  // 0000000035B4: BF8A0000
	v_mfma_f32_16x16x16_bf16 v[24:27], a[48:49], a[16:17], v[24:27]// 0000000035B8: D3E10018 1C622130
	s_add_u32 m0, 0, s48                                       // 0000000035C0: 807C3080
	buffer_load_dword v15, s[4:7], 0 offen lds                 // 0000000035C4: E0511000 8001000F
	v_mfma_f32_16x16x16_bf16 v[24:27], a[50:51], a[18:19], v[24:27]// 0000000035CC: D3E10018 1C622532
	s_add_u32 m0, 0x100, s48                                   // 0000000035D4: 807C30FF 00000100
	buffer_load_dword v16, s[4:7], 0 offen lds                 // 0000000035DC: E0511000 80010010
	ds_read_b128 a[0:3], v19                                   // 0000000035E4: DBFE0000 00000013
	ds_read_b128 a[4:7], v19 offset:64                         // 0000000035EC: DBFE0040 04000013
	v_mfma_f32_16x16x16_bf16 v[24:27], a[52:53], a[20:21], v[24:27]// 0000000035F4: D3E10018 1C622934
	s_add_u32 m0, 0x200, s48                                   // 0000000035FC: 807C30FF 00000200
	buffer_load_dword v17, s[4:7], 0 offen lds                 // 000000003604: E0511000 80010011
	v_mfma_f32_16x16x16_bf16 v[24:27], a[54:55], a[22:23], v[24:27]// 00000000360C: D3E10018 1C622D36
	s_add_u32 m0, 0x300, s48                                   // 000000003614: 807C30FF 00000300
	buffer_load_dword v18, s[4:7], 0 offen lds                 // 00000000361C: E0511000 80010012
	ds_read_b128 a[8:11], v19 offset:512                       // 000000003624: DBFE0200 08000013
	ds_read_b128 a[12:15], v19 offset:576                      // 00000000362C: DBFE0240 0C000013
	v_mfma_f32_16x16x16_bf16 v[28:31], a[48:49], a[24:25], v[28:31]// 000000003634: D3E1001C 1C723130
	s_add_u32 s31, 0x100, s33                                  // 00000000363C: 801F21FF 00000100
	s_cmp_lt_u32 s31, s34                                      // 000000003644: BF0A221F
	s_cselect_b32 s44, s44, 0                                  // 000000003648: 852C802C
	buffer_load_dwordx4 a[40:43], v20, s[8:11], 0 offen        // 00000000364C: E05C1000 80822814
	v_mfma_f32_16x16x16_bf16 v[28:31], a[50:51], a[26:27], v[28:31]// 000000003654: D3E1001C 1C723532
	buffer_load_dwordx4 a[44:47], v21, s[8:11], 0 offen        // 00000000365C: E05C1000 80822C15
	s_add_u32 s4, s44, s4                                      // 000000003664: 8004042C
	s_addc_u32 s5, 0, s5                                       // 000000003668: 82050580
	v_mfma_f32_16x16x16_bf16 v[28:31], a[52:53], a[28:29], v[28:31]// 00000000366C: D3E1001C 1C723934
	s_add_u32 s31, 0xc0, s33                                   // 000000003674: 801F21FF 000000C0
	s_cmp_lt_u32 s31, s34                                      // 00000000367C: BF0A221F
	s_cselect_b32 s45, s45, 0                                  // 000000003680: 852D802D
	v_mfma_f32_16x16x16_bf16 v[28:31], a[54:55], a[30:31], v[28:31]// 000000003684: D3E1001C 1C723D36
	s_add_u32 s8, s45, s8                                      // 00000000368C: 8008082D
	s_addc_u32 s9, 0, s9                                       // 000000003690: 82090980
	s_addk_i32 s33, 0x40                                       // 000000003694: B7210040
	s_cmp_lt_i32 s33, s34                                      // 000000003698: BF042221
	s_cbranch_scc0 label_0492                                  // 00000000369C: BF84016A
	s_branch label_01C0                                        // 0000000036A0: BF82FE97

00000000000036a4 <label_0329>:
	s_waitcnt vmcnt(6) lgkmcnt(0)                              // 0000000036A4: BF8C0076
	s_barrier                                                  // 0000000036A8: BF8A0000
	v_mfma_f32_16x16x16_bf16 v[24:27], a[32:33], a[0:1], v[24:27]// 0000000036AC: D3E10018 1C620120
	s_add_u32 m0, 0, s46                                       // 0000000036B4: 807C2E80
	buffer_load_dword v15, s[4:7], 0 offen lds                 // 0000000036B8: E0511000 8001000F
	ds_read_b128 a[16:19], v19 offset:4224                     // 0000000036C0: DBFE1080 10000013
	ds_read_b128 a[20:23], v19 offset:4288                     // 0000000036C8: DBFE10C0 14000013
	v_mfma_f32_16x16x16_bf16 v[24:27], a[34:35], a[2:3], v[24:27]// 0000000036D0: D3E10018 1C620522
	s_add_u32 m0, 0x100, s46                                   // 0000000036D8: 807C2EFF 00000100
	buffer_load_dword v16, s[4:7], 0 offen lds                 // 0000000036E0: E0511000 80010010
	v_mfma_f32_16x16x16_bf16 v[24:27], a[36:37], a[4:5], v[24:27]// 0000000036E8: D3E10018 1C620924
	s_add_u32 m0, 0x200, s46                                   // 0000000036F0: 807C2EFF 00000200
	buffer_load_dword v17, s[4:7], 0 offen lds                 // 0000000036F8: E0511000 80010011
	ds_read_b128 a[24:27], v19 offset:4736                     // 000000003700: DBFE1280 18000013
	ds_read_b128 a[28:31], v19 offset:4800                     // 000000003708: DBFE12C0 1C000013
	v_mfma_f32_16x16x16_bf16 v[24:27], a[38:39], a[6:7], v[24:27]// 000000003710: D3E10018 1C620D26
	s_add_u32 m0, 0x300, s46                                   // 000000003718: 807C2EFF 00000300
	buffer_load_dword v18, s[4:7], 0 offen lds                 // 000000003720: E0511000 80010012
	v_mfma_f32_16x16x16_bf16 v[28:31], a[32:33], a[8:9], v[28:31]// 000000003728: D3E1001C 1C721120
	s_add_u32 s31, 0x100, s33                                  // 000000003730: 801F21FF 00000100
	s_cmp_lt_u32 s31, s34                                      // 000000003738: BF0A221F
	s_cselect_b32 s44, s44, 0                                  // 00000000373C: 852C802C
	buffer_load_dwordx4 a[48:51], v20, s[8:11], 0 offen        // 000000003740: E05C1000 80823014
	s_add_u32 s4, s44, s4                                      // 000000003748: 8004042C
	s_addc_u32 s5, 0, s5                                       // 00000000374C: 82050580
	v_mfma_f32_16x16x16_bf16 v[28:31], a[34:35], a[10:11], v[28:31]// 000000003750: D3E1001C 1C721522
	buffer_load_dwordx4 a[52:55], v21, s[8:11], 0 offen        // 000000003758: E05C1000 80823415
	v_mfma_f32_16x16x16_bf16 v[28:31], a[36:37], a[12:13], v[28:31]// 000000003760: D3E1001C 1C721924
	s_add_u32 s31, 0xc0, s33                                   // 000000003768: 801F21FF 000000C0
	s_cmp_lt_u32 s31, s34                                      // 000000003770: BF0A221F
	s_cselect_b32 s45, s45, 0                                  // 000000003774: 852D802D
	s_add_u32 s8, s45, s8                                      // 000000003778: 8008082D
	s_addc_u32 s9, 0, s9                                       // 00000000377C: 82090980
	v_mfma_f32_16x16x16_bf16 v[28:31], a[38:39], a[14:15], v[28:31]// 000000003780: D3E1001C 1C721D26
	s_addk_i32 s33, 0x40                                       // 000000003788: B7210040
	s_cmp_lt_i32 s33, s34                                      // 00000000378C: BF042221
	s_cbranch_scc0 label_0492                                  // 000000003790: BF84012D
	s_waitcnt vmcnt(6) lgkmcnt(0)                              // 000000003794: BF8C0076
	s_barrier                                                  // 000000003798: BF8A0000
	v_mfma_f32_16x16x16_bf16 v[24:27], a[40:41], a[16:17], v[24:27]// 00000000379C: D3E10018 1C622128
	s_add_u32 m0, 0, s47                                       // 0000000037A4: 807C2F80
	buffer_load_dword v15, s[4:7], 0 offen lds                 // 0000000037A8: E0511000 8001000F
	ds_read_b128 a[0:3], v19 offset:8448                       // 0000000037B0: DBFE2100 00000013
	ds_read_b128 a[4:7], v19 offset:8512                       // 0000000037B8: DBFE2140 04000013
	v_mfma_f32_16x16x16_bf16 v[24:27], a[42:43], a[18:19], v[24:27]// 0000000037C0: D3E10018 1C62252A
	s_add_u32 m0, 0x100, s47                                   // 0000000037C8: 807C2FFF 00000100
	buffer_load_dword v16, s[4:7], 0 offen lds                 // 0000000037D0: E0511000 80010010
	v_mfma_f32_16x16x16_bf16 v[24:27], a[44:45], a[20:21], v[24:27]// 0000000037D8: D3E10018 1C62292C
	s_add_u32 m0, 0x200, s47                                   // 0000000037E0: 807C2FFF 00000200
	buffer_load_dword v17, s[4:7], 0 offen lds                 // 0000000037E8: E0511000 80010011
	ds_read_b128 a[8:11], v19 offset:8960                      // 0000000037F0: DBFE2300 08000013
	ds_read_b128 a[12:15], v19 offset:9024                     // 0000000037F8: DBFE2340 0C000013
	v_mfma_f32_16x16x16_bf16 v[24:27], a[46:47], a[22:23], v[24:27]// 000000003800: D3E10018 1C622D2E
	s_add_u32 m0, 0x300, s47                                   // 000000003808: 807C2FFF 00000300
	buffer_load_dword v18, s[4:7], 0 offen lds                 // 000000003810: E0511000 80010012
	v_mfma_f32_16x16x16_bf16 v[28:31], a[40:41], a[24:25], v[28:31]// 000000003818: D3E1001C 1C723128
	s_add_u32 s31, 0x100, s33                                  // 000000003820: 801F21FF 00000100
	s_cmp_lt_u32 s31, s34                                      // 000000003828: BF0A221F
	s_cselect_b32 s44, s44, 0                                  // 00000000382C: 852C802C
	buffer_load_dwordx4 a[32:35], v20, s[8:11], 0 offen        // 000000003830: E05C1000 80822014
	s_add_u32 s4, s44, s4                                      // 000000003838: 8004042C
	s_addc_u32 s5, 0, s5                                       // 00000000383C: 82050580
	v_mfma_f32_16x16x16_bf16 v[28:31], a[42:43], a[26:27], v[28:31]// 000000003840: D3E1001C 1C72352A
	buffer_load_dwordx4 a[36:39], v21, s[8:11], 0 offen        // 000000003848: E05C1000 80822415
	v_mfma_f32_16x16x16_bf16 v[28:31], a[44:45], a[28:29], v[28:31]// 000000003850: D3E1001C 1C72392C
	s_add_u32 s31, 0xc0, s33                                   // 000000003858: 801F21FF 000000C0
	s_cmp_lt_u32 s31, s34                                      // 000000003860: BF0A221F
	s_cselect_b32 s45, s45, 0                                  // 000000003864: 852D802D
	s_add_u32 s8, s45, s8                                      // 000000003868: 8008082D
	s_addc_u32 s9, 0, s9                                       // 00000000386C: 82090980
	v_mfma_f32_16x16x16_bf16 v[28:31], a[46:47], a[30:31], v[28:31]// 000000003870: D3E1001C 1C723D2E
	s_addk_i32 s33, 0x40                                       // 000000003878: B7210040
	s_cmp_lt_i32 s33, s34                                      // 00000000387C: BF042221
	s_cbranch_scc0 label_0492                                  // 000000003880: BF8400F1
	s_waitcnt vmcnt(6) lgkmcnt(0)                              // 000000003884: BF8C0076
	s_barrier                                                  // 000000003888: BF8A0000
	v_mfma_f32_16x16x16_bf16 v[24:27], a[48:49], a[0:1], v[24:27]// 00000000388C: D3E10018 1C620130
	s_add_u32 m0, 0, s48                                       // 000000003894: 807C3080
	buffer_load_dword v15, s[4:7], 0 offen lds                 // 000000003898: E0511000 8001000F
	ds_read_b128 a[16:19], v19                                 // 0000000038A0: DBFE0000 10000013
	ds_read_b128 a[20:23], v19 offset:64                       // 0000000038A8: DBFE0040 14000013
	v_mfma_f32_16x16x16_bf16 v[24:27], a[50:51], a[2:3], v[24:27]// 0000000038B0: D3E10018 1C620532
	s_add_u32 m0, 0x100, s48                                   // 0000000038B8: 807C30FF 00000100
	buffer_load_dword v16, s[4:7], 0 offen lds                 // 0000000038C0: E0511000 80010010
	v_mfma_f32_16x16x16_bf16 v[24:27], a[52:53], a[4:5], v[24:27]// 0000000038C8: D3E10018 1C620934
	s_add_u32 m0, 0x200, s48                                   // 0000000038D0: 807C30FF 00000200
	buffer_load_dword v17, s[4:7], 0 offen lds                 // 0000000038D8: E0511000 80010011
	ds_read_b128 a[24:27], v19 offset:512                      // 0000000038E0: DBFE0200 18000013
	ds_read_b128 a[28:31], v19 offset:576                      // 0000000038E8: DBFE0240 1C000013
	v_mfma_f32_16x16x16_bf16 v[24:27], a[54:55], a[6:7], v[24:27]// 0000000038F0: D3E10018 1C620D36
	s_add_u32 m0, 0x300, s48                                   // 0000000038F8: 807C30FF 00000300
	buffer_load_dword v18, s[4:7], 0 offen lds                 // 000000003900: E0511000 80010012
	v_mfma_f32_16x16x16_bf16 v[28:31], a[48:49], a[8:9], v[28:31]// 000000003908: D3E1001C 1C721130
	s_add_u32 s31, 0x100, s33                                  // 000000003910: 801F21FF 00000100
	s_cmp_lt_u32 s31, s34                                      // 000000003918: BF0A221F
	s_cselect_b32 s44, s44, 0                                  // 00000000391C: 852C802C
	buffer_load_dwordx4 a[40:43], v20, s[8:11], 0 offen        // 000000003920: E05C1000 80822814
	s_add_u32 s4, s44, s4                                      // 000000003928: 8004042C
	s_addc_u32 s5, 0, s5                                       // 00000000392C: 82050580
	v_mfma_f32_16x16x16_bf16 v[28:31], a[50:51], a[10:11], v[28:31]// 000000003930: D3E1001C 1C721532
	buffer_load_dwordx4 a[44:47], v21, s[8:11], 0 offen        // 000000003938: E05C1000 80822C15
	v_mfma_f32_16x16x16_bf16 v[28:31], a[52:53], a[12:13], v[28:31]// 000000003940: D3E1001C 1C721934
	s_add_u32 s31, 0xc0, s33                                   // 000000003948: 801F21FF 000000C0
	s_cmp_lt_u32 s31, s34                                      // 000000003950: BF0A221F
	s_cselect_b32 s45, s45, 0                                  // 000000003954: 852D802D
	s_add_u32 s8, s45, s8                                      // 000000003958: 8008082D
	s_addc_u32 s9, 0, s9                                       // 00000000395C: 82090980
	v_mfma_f32_16x16x16_bf16 v[28:31], a[54:55], a[14:15], v[28:31]// 000000003960: D3E1001C 1C721D36
	s_addk_i32 s33, 0x40                                       // 000000003968: B7210040
	s_cmp_lt_i32 s33, s34                                      // 00000000396C: BF042221
	s_cbranch_scc0 label_0492                                  // 000000003970: BF8400B5
	s_waitcnt vmcnt(6) lgkmcnt(0)                              // 000000003974: BF8C0076
	s_barrier                                                  // 000000003978: BF8A0000
	v_mfma_f32_16x16x16_bf16 v[24:27], a[32:33], a[16:17], v[24:27]// 00000000397C: D3E10018 1C622120
	s_add_u32 m0, 0, s46                                       // 000000003984: 807C2E80
	buffer_load_dword v15, s[4:7], 0 offen lds                 // 000000003988: E0511000 8001000F
	ds_read_b128 a[0:3], v19 offset:4224                       // 000000003990: DBFE1080 00000013
	ds_read_b128 a[4:7], v19 offset:4288                       // 000000003998: DBFE10C0 04000013
	v_mfma_f32_16x16x16_bf16 v[24:27], a[34:35], a[18:19], v[24:27]// 0000000039A0: D3E10018 1C622522
	s_add_u32 m0, 0x100, s46                                   // 0000000039A8: 807C2EFF 00000100
	buffer_load_dword v16, s[4:7], 0 offen lds                 // 0000000039B0: E0511000 80010010
	v_mfma_f32_16x16x16_bf16 v[24:27], a[36:37], a[20:21], v[24:27]// 0000000039B8: D3E10018 1C622924
	s_add_u32 m0, 0x200, s46                                   // 0000000039C0: 807C2EFF 00000200
	buffer_load_dword v17, s[4:7], 0 offen lds                 // 0000000039C8: E0511000 80010011
	ds_read_b128 a[8:11], v19 offset:4736                      // 0000000039D0: DBFE1280 08000013
	ds_read_b128 a[12:15], v19 offset:4800                     // 0000000039D8: DBFE12C0 0C000013
	v_mfma_f32_16x16x16_bf16 v[24:27], a[38:39], a[22:23], v[24:27]// 0000000039E0: D3E10018 1C622D26
	s_add_u32 m0, 0x300, s46                                   // 0000000039E8: 807C2EFF 00000300
	buffer_load_dword v18, s[4:7], 0 offen lds                 // 0000000039F0: E0511000 80010012
	v_mfma_f32_16x16x16_bf16 v[28:31], a[32:33], a[24:25], v[28:31]// 0000000039F8: D3E1001C 1C723120
	s_add_u32 s31, 0x100, s33                                  // 000000003A00: 801F21FF 00000100
	s_cmp_lt_u32 s31, s34                                      // 000000003A08: BF0A221F
	s_cselect_b32 s44, s44, 0                                  // 000000003A0C: 852C802C
	buffer_load_dwordx4 a[48:51], v20, s[8:11], 0 offen        // 000000003A10: E05C1000 80823014
	s_add_u32 s4, s44, s4                                      // 000000003A18: 8004042C
	s_addc_u32 s5, 0, s5                                       // 000000003A1C: 82050580
	v_mfma_f32_16x16x16_bf16 v[28:31], a[34:35], a[26:27], v[28:31]// 000000003A20: D3E1001C 1C723522
	buffer_load_dwordx4 a[52:55], v21, s[8:11], 0 offen        // 000000003A28: E05C1000 80823415
	v_mfma_f32_16x16x16_bf16 v[28:31], a[36:37], a[28:29], v[28:31]// 000000003A30: D3E1001C 1C723924
	s_add_u32 s31, 0xc0, s33                                   // 000000003A38: 801F21FF 000000C0
	s_cmp_lt_u32 s31, s34                                      // 000000003A40: BF0A221F
	s_cselect_b32 s45, s45, 0                                  // 000000003A44: 852D802D
	s_add_u32 s8, s45, s8                                      // 000000003A48: 8008082D
	s_addc_u32 s9, 0, s9                                       // 000000003A4C: 82090980
	v_mfma_f32_16x16x16_bf16 v[28:31], a[38:39], a[30:31], v[28:31]// 000000003A50: D3E1001C 1C723D26
	s_addk_i32 s33, 0x40                                       // 000000003A58: B7210040
	s_cmp_lt_i32 s33, s34                                      // 000000003A5C: BF042221
	s_cbranch_scc0 label_0492                                  // 000000003A60: BF840079
	s_waitcnt vmcnt(6) lgkmcnt(0)                              // 000000003A64: BF8C0076
	s_barrier                                                  // 000000003A68: BF8A0000
	v_mfma_f32_16x16x16_bf16 v[24:27], a[40:41], a[0:1], v[24:27]// 000000003A6C: D3E10018 1C620128
	s_add_u32 m0, 0, s47                                       // 000000003A74: 807C2F80
	buffer_load_dword v15, s[4:7], 0 offen lds                 // 000000003A78: E0511000 8001000F
	ds_read_b128 a[16:19], v19 offset:8448                     // 000000003A80: DBFE2100 10000013
	ds_read_b128 a[20:23], v19 offset:8512                     // 000000003A88: DBFE2140 14000013
	v_mfma_f32_16x16x16_bf16 v[24:27], a[42:43], a[2:3], v[24:27]// 000000003A90: D3E10018 1C62052A
	s_add_u32 m0, 0x100, s47                                   // 000000003A98: 807C2FFF 00000100
	buffer_load_dword v16, s[4:7], 0 offen lds                 // 000000003AA0: E0511000 80010010
	v_mfma_f32_16x16x16_bf16 v[24:27], a[44:45], a[4:5], v[24:27]// 000000003AA8: D3E10018 1C62092C
	s_add_u32 m0, 0x200, s47                                   // 000000003AB0: 807C2FFF 00000200
	buffer_load_dword v17, s[4:7], 0 offen lds                 // 000000003AB8: E0511000 80010011
	ds_read_b128 a[24:27], v19 offset:8960                     // 000000003AC0: DBFE2300 18000013
	ds_read_b128 a[28:31], v19 offset:9024                     // 000000003AC8: DBFE2340 1C000013
	v_mfma_f32_16x16x16_bf16 v[24:27], a[46:47], a[6:7], v[24:27]// 000000003AD0: D3E10018 1C620D2E
	s_add_u32 m0, 0x300, s47                                   // 000000003AD8: 807C2FFF 00000300
	buffer_load_dword v18, s[4:7], 0 offen lds                 // 000000003AE0: E0511000 80010012
	v_mfma_f32_16x16x16_bf16 v[28:31], a[40:41], a[8:9], v[28:31]// 000000003AE8: D3E1001C 1C721128
	s_add_u32 s31, 0x100, s33                                  // 000000003AF0: 801F21FF 00000100
	s_cmp_lt_u32 s31, s34                                      // 000000003AF8: BF0A221F
	s_cselect_b32 s44, s44, 0                                  // 000000003AFC: 852C802C
	buffer_load_dwordx4 a[32:35], v20, s[8:11], 0 offen        // 000000003B00: E05C1000 80822014
	s_add_u32 s4, s44, s4                                      // 000000003B08: 8004042C
	s_addc_u32 s5, 0, s5                                       // 000000003B0C: 82050580
	v_mfma_f32_16x16x16_bf16 v[28:31], a[42:43], a[10:11], v[28:31]// 000000003B10: D3E1001C 1C72152A
	buffer_load_dwordx4 a[36:39], v21, s[8:11], 0 offen        // 000000003B18: E05C1000 80822415
	v_mfma_f32_16x16x16_bf16 v[28:31], a[44:45], a[12:13], v[28:31]// 000000003B20: D3E1001C 1C72192C
	s_add_u32 s31, 0xc0, s33                                   // 000000003B28: 801F21FF 000000C0
	s_cmp_lt_u32 s31, s34                                      // 000000003B30: BF0A221F
	s_cselect_b32 s45, s45, 0                                  // 000000003B34: 852D802D
	s_add_u32 s8, s45, s8                                      // 000000003B38: 8008082D
	s_addc_u32 s9, 0, s9                                       // 000000003B3C: 82090980
	v_mfma_f32_16x16x16_bf16 v[28:31], a[46:47], a[14:15], v[28:31]// 000000003B40: D3E1001C 1C721D2E
	s_addk_i32 s33, 0x40                                       // 000000003B48: B7210040
	s_cmp_lt_i32 s33, s34                                      // 000000003B4C: BF042221
	s_cbranch_scc0 label_0492                                  // 000000003B50: BF84003D
	s_waitcnt vmcnt(6) lgkmcnt(0)                              // 000000003B54: BF8C0076
	s_barrier                                                  // 000000003B58: BF8A0000
	v_mfma_f32_16x16x16_bf16 v[24:27], a[48:49], a[16:17], v[24:27]// 000000003B5C: D3E10018 1C622130
	s_add_u32 m0, 0, s48                                       // 000000003B64: 807C3080
	buffer_load_dword v15, s[4:7], 0 offen lds                 // 000000003B68: E0511000 8001000F
	ds_read_b128 a[0:3], v19                                   // 000000003B70: DBFE0000 00000013
	ds_read_b128 a[4:7], v19 offset:64                         // 000000003B78: DBFE0040 04000013
	v_mfma_f32_16x16x16_bf16 v[24:27], a[50:51], a[18:19], v[24:27]// 000000003B80: D3E10018 1C622532
	s_add_u32 m0, 0x100, s48                                   // 000000003B88: 807C30FF 00000100
	buffer_load_dword v16, s[4:7], 0 offen lds                 // 000000003B90: E0511000 80010010
	v_mfma_f32_16x16x16_bf16 v[24:27], a[52:53], a[20:21], v[24:27]// 000000003B98: D3E10018 1C622934
	s_add_u32 m0, 0x200, s48                                   // 000000003BA0: 807C30FF 00000200
	buffer_load_dword v17, s[4:7], 0 offen lds                 // 000000003BA8: E0511000 80010011
	ds_read_b128 a[8:11], v19 offset:512                       // 000000003BB0: DBFE0200 08000013
	ds_read_b128 a[12:15], v19 offset:576                      // 000000003BB8: DBFE0240 0C000013
	v_mfma_f32_16x16x16_bf16 v[24:27], a[54:55], a[22:23], v[24:27]// 000000003BC0: D3E10018 1C622D36
	s_add_u32 m0, 0x300, s48                                   // 000000003BC8: 807C30FF 00000300
	buffer_load_dword v18, s[4:7], 0 offen lds                 // 000000003BD0: E0511000 80010012
	v_mfma_f32_16x16x16_bf16 v[28:31], a[48:49], a[24:25], v[28:31]// 000000003BD8: D3E1001C 1C723130
	s_add_u32 s31, 0x100, s33                                  // 000000003BE0: 801F21FF 00000100
	s_cmp_lt_u32 s31, s34                                      // 000000003BE8: BF0A221F
	s_cselect_b32 s44, s44, 0                                  // 000000003BEC: 852C802C
	buffer_load_dwordx4 a[40:43], v20, s[8:11], 0 offen        // 000000003BF0: E05C1000 80822814
	s_add_u32 s4, s44, s4                                      // 000000003BF8: 8004042C
	s_addc_u32 s5, 0, s5                                       // 000000003BFC: 82050580
	v_mfma_f32_16x16x16_bf16 v[28:31], a[50:51], a[26:27], v[28:31]// 000000003C00: D3E1001C 1C723532
	buffer_load_dwordx4 a[44:47], v21, s[8:11], 0 offen        // 000000003C08: E05C1000 80822C15
	v_mfma_f32_16x16x16_bf16 v[28:31], a[52:53], a[28:29], v[28:31]// 000000003C10: D3E1001C 1C723934
	s_add_u32 s31, 0xc0, s33                                   // 000000003C18: 801F21FF 000000C0
	s_cmp_lt_u32 s31, s34                                      // 000000003C20: BF0A221F
	s_cselect_b32 s45, s45, 0                                  // 000000003C24: 852D802D
	s_add_u32 s8, s45, s8                                      // 000000003C28: 8008082D
	s_addc_u32 s9, 0, s9                                       // 000000003C2C: 82090980
	v_mfma_f32_16x16x16_bf16 v[28:31], a[54:55], a[30:31], v[28:31]// 000000003C30: D3E1001C 1C723D36
	s_addk_i32 s33, 0x40                                       // 000000003C38: B7210040
	s_cmp_lt_i32 s33, s34                                      // 000000003C3C: BF042221
	s_cbranch_scc0 label_0492                                  // 000000003C40: BF840001
	s_branch label_0329                                        // 000000003C44: BF82FE97

0000000000003c48 <label_0492>:
	s_cmp_le_u32 s52, 1                                        // 000000003C48: BF0B8134
	s_cbranch_scc1 label_06C1                                  // 000000003C4C: BF85022D
	s_mov_b32 s31, 32                                          // 000000003C50: BE9F00A0
	s_cmp_lt_u32 s55, s31                                      // 000000003C54: BF0A1F37
	s_cbranch_scc1 label_0578                                  // 000000003C58: BF8500E1
	v_mov_b32_e32 v5, 0                                        // 000000003C5C: 7E0A0280
	s_and_b32 s17, s17, 0xffff                                 // 000000003C60: 8611FF11 0000FFFF
	s_cmp_lt_u32 s54, 1                                        // 000000003C68: BF0A8136
	s_cbranch_scc0 label_04F9                                  // 000000003C6C: BF84005D
	v_lshrrev_b32_e32 v4, 4, v0                                // 000000003C70: 20080084
	v_mul_u32_u24_e32 v19, 0x44, v4                            // 000000003C74: 102608FF 00000044
	v_and_b32_e32 v4, 15, v0                                   // 000000003C7C: 2608008F
	v_mul_lo_u32 v5, 4, v4                                     // 000000003C80: D2850005 00020884
	v_add_u32_e32 v19, v5, v19                                 // 000000003C88: 68262705
	s_mul_i32 s31, s24, 0x110                                  // 000000003C8C: 921FFF18 00000110
	v_add_u32_e32 v19, s31, v19                                // 000000003C94: 6826261F
	v_lshlrev_b32_e32 v19, 2, v19                              // 000000003C98: 24262682
	v_lshrrev_b32_e32 v4, 2, v0                                // 000000003C9C: 20080082
	v_mul_u32_u24_e32 v22, 0x44, v4                            // 000000003CA0: 102C08FF 00000044
	v_and_b32_e32 v4, 3, v0                                    // 000000003CA8: 26080083
	v_add_u32_e32 v22, v4, v22                                 // 000000003CAC: 682C2D04
	s_mul_i32 s31, s24, 4                                      // 000000003CB0: 921F8418
	v_add_u32_e32 v22, s31, v22                                // 000000003CB4: 682C2C1F
	v_lshlrev_b32_e32 v22, 2, v22                              // 000000003CB8: 242C2C82
	s_waitcnt vmcnt(0) expcnt(0) lgkmcnt(0)                    // 000000003CBC: BF8C0000
	s_barrier                                                  // 000000003CC0: BF8A0000
	ds_write_b128 v19, v[24:27]                                // 000000003CC4: D9BE0000 00001813
	ds_write_b128 v19, v[28:31] offset:4352                    // 000000003CCC: D9BE1100 00001C13
	s_waitcnt lgkmcnt(0)                                       // 000000003CD4: BF8CC07F
	s_barrier                                                  // 000000003CD8: BF8A0000
	ds_read_b32 v24, v22                                       // 000000003CDC: D86C0000 18000016
	ds_read_b32 v25, v22 offset:64                             // 000000003CE4: D86C0040 19000016
	ds_read_b32 v26, v22 offset:128                            // 000000003CEC: D86C0080 1A000016
	ds_read_b32 v27, v22 offset:192                            // 000000003CF4: D86C00C0 1B000016
	ds_read_b32 v28, v22 offset:4352                           // 000000003CFC: D86C1100 1C000016
	ds_read_b32 v29, v22 offset:4416                           // 000000003D04: D86C1140 1D000016
	ds_read_b32 v30, v22 offset:4480                           // 000000003D0C: D86C1180 1E000016
	ds_read_b32 v31, v22 offset:4544                           // 000000003D14: D86C11C0 1F000016
	s_waitcnt lgkmcnt(0)                                       // 000000003D1C: BF8CC07F
	s_cmp_eq_u32 s24, 0                                        // 000000003D20: BF068018
	s_cbranch_scc0 label_04D0                                  // 000000003D24: BF840006
	s_mov_b32 s31, 0                                           // 000000003D28: BE9F0080

0000000000003d2c <label_04CB>:
	s_load_dword s32, s[40:41], s62 glc                        // 000000003D2C: C0010814 0000003E
	s_waitcnt lgkmcnt(0)                                       // 000000003D34: BF8CC07F
	s_cmp_gt_u32 s32, s31                                      // 000000003D38: BF081F20
	s_cbranch_scc0 label_04CB                                  // 000000003D3C: BF84FFFB

0000000000003d40 <label_04D0>:
	s_barrier                                                  // 000000003D40: BF8A0000
	s_mul_i32 s31, s30, 4                                      // 000000003D44: 921F841E
	v_mov_b32_e32 v4, v14                                      // 000000003D48: 7E08030E
	global_atomic_add_f32 v4, v24, s[16:17]                    // 000000003D4C: DD348000 00101804
	v_add_u32_e64 v4, v4, s31                                  // 000000003D54: D1340004 00003F04
	global_atomic_add_f32 v4, v25, s[16:17]                    // 000000003D5C: DD348000 00101904
	v_add_u32_e64 v4, v4, s31                                  // 000000003D64: D1340004 00003F04
	global_atomic_add_f32 v4, v26, s[16:17]                    // 000000003D6C: DD348000 00101A04
	v_add_u32_e64 v4, v4, s31                                  // 000000003D74: D1340004 00003F04
	global_atomic_add_f32 v4, v27, s[16:17]                    // 000000003D7C: DD348000 00101B04
	v_add_u32_e64 v4, v4, s31                                  // 000000003D84: D1340004 00003F04
	global_atomic_add_f32 v4, v28, s[16:17]                    // 000000003D8C: DD348000 00101C04
	v_add_u32_e64 v4, v4, s31                                  // 000000003D94: D1340004 00003F04
	global_atomic_add_f32 v4, v29, s[16:17]                    // 000000003D9C: DD348000 00101D04
	v_add_u32_e64 v4, v4, s31                                  // 000000003DA4: D1340004 00003F04
	global_atomic_add_f32 v4, v30, s[16:17]                    // 000000003DAC: DD348000 00101E04
	v_add_u32_e64 v4, v4, s31                                  // 000000003DB4: D1340004 00003F04
	global_atomic_add_f32 v4, v31, s[16:17]                    // 000000003DBC: DD348000 00101F04
	v_add_u32_e64 v4, v4, s31                                  // 000000003DC4: D1340004 00003F04
	s_barrier                                                  // 000000003DCC: BF8A0000
	s_cmp_eq_u32 s24, 0                                        // 000000003DD0: BF068018
	s_cbranch_scc0 label_0704                                  // 000000003DD4: BF84020E
	s_atomic_dec s52, s[40:41], s62                            // 000000003DD8: C2300D14 0000003E
	s_branch label_0704                                        // 000000003DE0: BF82020B

0000000000003de4 <label_04F9>:
	v_lshrrev_b32_e32 v4, 4, v0                                // 000000003DE4: 20080084
	v_mul_u32_u24_e32 v19, 34, v4                              // 000000003DE8: 102608A2
	v_and_b32_e32 v4, 15, v0                                   // 000000003DEC: 2608008F
	v_mul_lo_u32 v5, 2, v4                                     // 000000003DF0: D2850005 00020882
	v_add_u32_e32 v19, v5, v19                                 // 000000003DF8: 68262705
	s_mul_i32 s31, s24, 0x88                                   // 000000003DFC: 921FFF18 00000088
	v_add_u32_e32 v19, s31, v19                                // 000000003E04: 6826261F
	v_lshlrev_b32_e32 v19, 2, v19                              // 000000003E08: 24262682
	v_and_b32_e32 v4, 31, v0                                   // 000000003E0C: 2608009F
	v_lshrrev_b32_e32 v5, 1, v4                                // 000000003E10: 200A0881
	v_mul_u32_u24_e32 v22, 34, v5                              // 000000003E14: 102C0AA2
	v_and_b32_e32 v5, 1, v4                                    // 000000003E18: 260A0881
	v_add_u32_e32 v22, v5, v22                                 // 000000003E1C: 682C2D05
	v_lshrrev_b32_e32 v4, 5, v0                                // 000000003E20: 20080085
	v_mul_u32_u24_e32 v4, 8, v4                                // 000000003E24: 10080888
	v_add_u32_e32 v22, v4, v22                                 // 000000003E28: 682C2D04
	s_mul_i32 s31, s24, 2                                      // 000000003E2C: 921F8218
	v_add_u32_e32 v22, s31, v22                                // 000000003E30: 682C2C1F
	v_lshlrev_b32_e32 v22, 2, v22                              // 000000003E34: 242C2C82
	s_waitcnt vmcnt(0) expcnt(0) lgkmcnt(0)                    // 000000003E38: BF8C0000
	s_barrier                                                  // 000000003E3C: BF8A0000
	v_cmp_u_f32_e64 s[60:61], v24, v24                         // 000000003E40: D048003C 00023118
	v_add3_u32 v8, v24, v11, 1                                 // 000000003E48: D1FF0008 02061718
	v_cndmask_b32_e64 v4, v8, v10, s[60:61]                    // 000000003E50: D1000004 00F21508
	v_cmp_u_f32_e64 s[60:61], v25, v25                         // 000000003E58: D048003C 00023319
	v_add3_u32 v8, v25, v11, 1                                 // 000000003E60: D1FF0008 02061719
	v_cndmask_b32_e64 v5, v8, v10, s[60:61]                    // 000000003E68: D1000005 00F21508
	v_perm_b32 v32, v5, v4, s35                                // 000000003E70: D1ED0020 008E0905
	v_cmp_u_f32_e64 s[60:61], v26, v26                         // 000000003E78: D048003C 0002351A
	v_add3_u32 v8, v26, v11, 1                                 // 000000003E80: D1FF0008 0206171A
	v_cndmask_b32_e64 v4, v8, v10, s[60:61]                    // 000000003E88: D1000004 00F21508
	v_cmp_u_f32_e64 s[60:61], v27, v27                         // 000000003E90: D048003C 0002371B
	v_add3_u32 v8, v27, v11, 1                                 // 000000003E98: D1FF0008 0206171B
	v_cndmask_b32_e64 v5, v8, v10, s[60:61]                    // 000000003EA0: D1000005 00F21508
	v_perm_b32 v33, v5, v4, s35                                // 000000003EA8: D1ED0021 008E0905
	v_cmp_u_f32_e64 s[60:61], v28, v28                         // 000000003EB0: D048003C 0002391C
	v_add3_u32 v8, v28, v11, 1                                 // 000000003EB8: D1FF0008 0206171C
	v_cndmask_b32_e64 v4, v8, v10, s[60:61]                    // 000000003EC0: D1000004 00F21508
	v_cmp_u_f32_e64 s[60:61], v29, v29                         // 000000003EC8: D048003C 00023B1D
	v_add3_u32 v8, v29, v11, 1                                 // 000000003ED0: D1FF0008 0206171D
	v_cndmask_b32_e64 v5, v8, v10, s[60:61]                    // 000000003ED8: D1000005 00F21508
	v_perm_b32 v34, v5, v4, s35                                // 000000003EE0: D1ED0022 008E0905
	v_cmp_u_f32_e64 s[60:61], v30, v30                         // 000000003EE8: D048003C 00023D1E
	v_add3_u32 v8, v30, v11, 1                                 // 000000003EF0: D1FF0008 0206171E
	v_cndmask_b32_e64 v4, v8, v10, s[60:61]                    // 000000003EF8: D1000004 00F21508
	v_cmp_u_f32_e64 s[60:61], v31, v31                         // 000000003F00: D048003C 00023F1F
	v_add3_u32 v8, v31, v11, 1                                 // 000000003F08: D1FF0008 0206171F
	v_cndmask_b32_e64 v5, v8, v10, s[60:61]                    // 000000003F10: D1000005 00F21508
	v_perm_b32 v35, v5, v4, s35                                // 000000003F18: D1ED0023 008E0905
	ds_write_b64 v19, v[32:33]                                 // 000000003F20: D89A0000 00002013
	ds_write_b64 v19, v[34:35] offset:2176                     // 000000003F28: D89A0880 00002213
	s_waitcnt lgkmcnt(0)                                       // 000000003F30: BF8CC07F
	s_barrier                                                  // 000000003F34: BF8A0000
	ds_read_b32 v32, v22                                       // 000000003F38: D86C0000 20000016
	ds_read_b32 v33, v22 offset:64                             // 000000003F40: D86C0040 21000016
	ds_read_b32 v34, v22 offset:2176                           // 000000003F48: D86C0880 22000016
	ds_read_b32 v35, v22 offset:2240                           // 000000003F50: D86C08C0 23000016
	s_waitcnt lgkmcnt(0)                                       // 000000003F58: BF8CC07F
	s_cmp_eq_u32 s24, 0                                        // 000000003F5C: BF068018
	s_cbranch_scc0 label_055F                                  // 000000003F60: BF840006
	s_mov_b32 s31, 0                                           // 000000003F64: BE9F0080

0000000000003f68 <label_055A>:
	s_load_dword s32, s[40:41], s62 glc                        // 000000003F68: C0010814 0000003E
	s_waitcnt lgkmcnt(0)                                       // 000000003F70: BF8CC07F
	s_cmp_gt_u32 s32, s31                                      // 000000003F74: BF081F20
	s_cbranch_scc0 label_055A                                  // 000000003F78: BF84FFFB

0000000000003f7c <label_055F>:
	s_barrier                                                  // 000000003F7C: BF8A0000
	s_mul_i32 s31, s30, 8                                      // 000000003F80: 921F881E
	v_mov_b32_e32 v4, v14                                      // 000000003F84: 7E08030E
	global_atomic_pk_add_bf16 v4, v32, s[16:17]                // 000000003F88: DD488000 00102004
	v_add_u32_e64 v4, v4, s31                                  // 000000003F90: D1340004 00003F04
	global_atomic_pk_add_bf16 v4, v33, s[16:17]                // 000000003F98: DD488000 00102104
	v_add_u32_e64 v4, v4, s31                                  // 000000003FA0: D1340004 00003F04
	global_atomic_pk_add_bf16 v4, v34, s[16:17]                // 000000003FA8: DD488000 00102204
	v_add_u32_e64 v4, v4, s31                                  // 000000003FB0: D1340004 00003F04
	global_atomic_pk_add_bf16 v4, v35, s[16:17]                // 000000003FB8: DD488000 00102304
	v_add_u32_e64 v4, v4, s31                                  // 000000003FC0: D1340004 00003F04
	s_barrier                                                  // 000000003FC8: BF8A0000
	s_cmp_eq_u32 s24, 0                                        // 000000003FCC: BF068018
	s_cbranch_scc0 label_0704                                  // 000000003FD0: BF84018F
	s_atomic_dec s52, s[40:41], s62                            // 000000003FD4: C2300D14 0000003E
	s_branch label_0704                                        // 000000003FDC: BF82018C

0000000000003fe0 <label_0578>:
	v_mov_b32_e32 v5, 0                                        // 000000003FE0: 7E0A0280
	s_and_b32 s17, s17, 0xffff                                 // 000000003FE4: 8611FF11 0000FFFF
	s_cmp_lt_u32 s54, 1                                        // 000000003FEC: BF0A8136
	s_cbranch_scc0 label_05F8                                  // 000000003FF0: BF84007B
	v_lshrrev_b32_e32 v4, 4, v0                                // 000000003FF4: 20080084
	v_mul_u32_u24_e32 v19, 0x44, v4                            // 000000003FF8: 102608FF 00000044
	v_and_b32_e32 v4, 15, v0                                   // 000000004000: 2608008F
	v_mul_lo_u32 v5, 4, v4                                     // 000000004004: D2850005 00020884
	v_add_u32_e32 v19, v5, v19                                 // 00000000400C: 68262705
	s_mul_i32 s31, s24, 0x110                                  // 000000004010: 921FFF18 00000110
	v_add_u32_e32 v19, s31, v19                                // 000000004018: 6826261F
	v_lshlrev_b32_e32 v19, 2, v19                              // 00000000401C: 24262682
	v_lshrrev_b32_e32 v4, 2, v0                                // 000000004020: 20080082
	v_mul_u32_u24_e32 v22, 0x44, v4                            // 000000004024: 102C08FF 00000044
	v_and_b32_e32 v4, 3, v0                                    // 00000000402C: 26080083
	v_add_u32_e32 v22, v4, v22                                 // 000000004030: 682C2D04
	s_mul_i32 s31, s24, 4                                      // 000000004034: 921F8418
	v_add_u32_e32 v22, s31, v22                                // 000000004038: 682C2C1F
	v_lshlrev_b32_e32 v22, 2, v22                              // 00000000403C: 242C2C82
	s_lshr_b32 s31, s55, 2                                     // 000000004040: 8F1F8237
	s_and_b32 s32, s55, 3                                      // 000000004044: 86208337
	s_cmp_lt_u32 s24, s32                                      // 000000004048: BF0A2018
	s_cselect_b32 s32, 1, 0                                    // 00000000404C: 85208081
	s_add_u32 s55, s31, s32                                    // 000000004050: 8037201F
	s_mov_b32 s33, 0                                           // 000000004054: BEA10080
	s_waitcnt vmcnt(0) expcnt(0) lgkmcnt(0)                    // 000000004058: BF8C0000
	s_barrier                                                  // 00000000405C: BF8A0000
	ds_write_b128 v19, v[24:27]                                // 000000004060: D9BE0000 00001813
	ds_write_b128 v19, v[28:31] offset:4352                    // 000000004068: D9BE1100 00001C13
	s_waitcnt lgkmcnt(0)                                       // 000000004070: BF8CC07F
	s_barrier                                                  // 000000004074: BF8A0000
	ds_read_b32 v24, v22                                       // 000000004078: D86C0000 18000016
	ds_read_b32 v25, v22 offset:64                             // 000000004080: D86C0040 19000016
	ds_read_b32 v26, v22 offset:128                            // 000000004088: D86C0080 1A000016
	ds_read_b32 v27, v22 offset:192                            // 000000004090: D86C00C0 1B000016
	ds_read_b32 v28, v22 offset:4352                           // 000000004098: D86C1100 1C000016
	ds_read_b32 v29, v22 offset:4416                           // 0000000040A0: D86C1140 1D000016
	ds_read_b32 v30, v22 offset:4480                           // 0000000040A8: D86C1180 1E000016
	ds_read_b32 v31, v22 offset:4544                           // 0000000040B0: D86C11C0 1F000016
	s_waitcnt lgkmcnt(0)                                       // 0000000040B8: BF8CC07F
	s_cmp_eq_u32 s24, 0                                        // 0000000040BC: BF068018
	s_cbranch_scc0 label_05B7                                  // 0000000040C0: BF840006
	s_mov_b32 s31, 0                                           // 0000000040C4: BE9F0080

00000000000040c8 <label_05B2>:
	s_load_dword s32, s[40:41], s62 glc                        // 0000000040C8: C0010814 0000003E
	s_waitcnt lgkmcnt(0)                                       // 0000000040D0: BF8CC07F
	s_cmp_gt_u32 s32, s31                                      // 0000000040D4: BF081F20
	s_cbranch_scc0 label_05B2                                  // 0000000040D8: BF84FFFB

00000000000040dc <label_05B7>:
	s_barrier                                                  // 0000000040DC: BF8A0000
	s_mul_i32 s31, s30, 4                                      // 0000000040E0: 921F841E
	v_mov_b32_e32 v4, v14                                      // 0000000040E4: 7E08030E
	s_cmp_lt_i32 s33, s55                                      // 0000000040E8: BF043721
	s_cbranch_scc0 label_05F2                                  // 0000000040EC: BF840036
	global_atomic_add_f32 v4, v24, s[16:17]                    // 0000000040F0: DD348000 00101804
	v_add_u32_e64 v4, v4, s31                                  // 0000000040F8: D1340004 00003F04
	s_addk_i32 s33, 0x1                                        // 000000004100: B7210001
	s_cmp_lt_i32 s33, s55                                      // 000000004104: BF043721
	s_cbranch_scc0 label_05F2                                  // 000000004108: BF84002F
	global_atomic_add_f32 v4, v25, s[16:17]                    // 00000000410C: DD348000 00101904
	v_add_u32_e64 v4, v4, s31                                  // 000000004114: D1340004 00003F04
	s_addk_i32 s33, 0x1                                        // 00000000411C: B7210001
	s_cmp_lt_i32 s33, s55                                      // 000000004120: BF043721
	s_cbranch_scc0 label_05F2                                  // 000000004124: BF840028
	global_atomic_add_f32 v4, v26, s[16:17]                    // 000000004128: DD348000 00101A04
	v_add_u32_e64 v4, v4, s31                                  // 000000004130: D1340004 00003F04
	s_addk_i32 s33, 0x1                                        // 000000004138: B7210001
	s_cmp_lt_i32 s33, s55                                      // 00000000413C: BF043721
	s_cbranch_scc0 label_05F2                                  // 000000004140: BF840021
	global_atomic_add_f32 v4, v27, s[16:17]                    // 000000004144: DD348000 00101B04
	v_add_u32_e64 v4, v4, s31                                  // 00000000414C: D1340004 00003F04
	s_addk_i32 s33, 0x1                                        // 000000004154: B7210001
	s_cmp_lt_i32 s33, s55                                      // 000000004158: BF043721
	s_cbranch_scc0 label_05F2                                  // 00000000415C: BF84001A
	global_atomic_add_f32 v4, v28, s[16:17]                    // 000000004160: DD348000 00101C04
	v_add_u32_e64 v4, v4, s31                                  // 000000004168: D1340004 00003F04
	s_addk_i32 s33, 0x1                                        // 000000004170: B7210001
	s_cmp_lt_i32 s33, s55                                      // 000000004174: BF043721
	s_cbranch_scc0 label_05F2                                  // 000000004178: BF840013
	global_atomic_add_f32 v4, v29, s[16:17]                    // 00000000417C: DD348000 00101D04
	v_add_u32_e64 v4, v4, s31                                  // 000000004184: D1340004 00003F04
	s_addk_i32 s33, 0x1                                        // 00000000418C: B7210001
	s_cmp_lt_i32 s33, s55                                      // 000000004190: BF043721
	s_cbranch_scc0 label_05F2                                  // 000000004194: BF84000C
	global_atomic_add_f32 v4, v30, s[16:17]                    // 000000004198: DD348000 00101E04
	v_add_u32_e64 v4, v4, s31                                  // 0000000041A0: D1340004 00003F04
	s_addk_i32 s33, 0x1                                        // 0000000041A8: B7210001
	s_cmp_lt_i32 s33, s55                                      // 0000000041AC: BF043721
	s_cbranch_scc0 label_05F2                                  // 0000000041B0: BF840005
	global_atomic_add_f32 v4, v31, s[16:17]                    // 0000000041B4: DD348000 00101F04
	v_add_u32_e64 v4, v4, s31                                  // 0000000041BC: D1340004 00003F04
	s_addk_i32 s33, 0x1                                        // 0000000041C4: B7210001

00000000000041c8 <label_05F2>:
	s_barrier                                                  // 0000000041C8: BF8A0000
	s_cmp_eq_u32 s24, 0                                        // 0000000041CC: BF068018
	s_cbranch_scc0 label_0704                                  // 0000000041D0: BF84010F
	s_atomic_dec s52, s[40:41], s62                            // 0000000041D4: C2300D14 0000003E
	s_branch label_0704                                        // 0000000041DC: BF82010C

00000000000041e0 <label_05F8>:
	v_lshrrev_b32_e32 v4, 4, v0                                // 0000000041E0: 20080084
	v_mul_u32_u24_e32 v19, 34, v4                              // 0000000041E4: 102608A2
	v_and_b32_e32 v4, 15, v0                                   // 0000000041E8: 2608008F
	v_mul_lo_u32 v5, 2, v4                                     // 0000000041EC: D2850005 00020882
	v_add_u32_e32 v19, v5, v19                                 // 0000000041F4: 68262705
	s_mul_i32 s31, s24, 0x88                                   // 0000000041F8: 921FFF18 00000088
	v_add_u32_e32 v19, s31, v19                                // 000000004200: 6826261F
	v_lshlrev_b32_e32 v19, 2, v19                              // 000000004204: 24262682
	v_and_b32_e32 v4, 31, v0                                   // 000000004208: 2608009F
	v_lshrrev_b32_e32 v5, 1, v4                                // 00000000420C: 200A0881
	v_mul_u32_u24_e32 v22, 34, v5                              // 000000004210: 102C0AA2
	v_and_b32_e32 v5, 1, v4                                    // 000000004214: 260A0881
	v_add_u32_e32 v22, v5, v22                                 // 000000004218: 682C2D05
	v_lshrrev_b32_e32 v4, 5, v0                                // 00000000421C: 20080085
	v_mul_u32_u24_e32 v4, 8, v4                                // 000000004220: 10080888
	v_add_u32_e32 v22, v4, v22                                 // 000000004224: 682C2D04
	s_mul_i32 s31, s24, 2                                      // 000000004228: 921F8218
	v_add_u32_e32 v22, s31, v22                                // 00000000422C: 682C2C1F
	v_lshlrev_b32_e32 v22, 2, v22                              // 000000004230: 242C2C82
	s_lshr_b32 s31, s55, 2                                     // 000000004234: 8F1F8237
	s_and_b32 s32, s55, 3                                      // 000000004238: 86208337
	s_cmp_lt_u32 s24, s32                                      // 00000000423C: BF0A2018
	s_cselect_b32 s32, 1, 0                                    // 000000004240: 85208081
	s_add_u32 s55, s31, s32                                    // 000000004244: 8037201F
	s_mov_b32 s33, 0                                           // 000000004248: BEA10080
	s_waitcnt vmcnt(0) expcnt(0) lgkmcnt(0)                    // 00000000424C: BF8C0000
	s_barrier                                                  // 000000004250: BF8A0000
	v_cmp_u_f32_e64 s[60:61], v24, v24                         // 000000004254: D048003C 00023118
	v_add3_u32 v8, v24, v11, 1                                 // 00000000425C: D1FF0008 02061718
	v_cndmask_b32_e64 v4, v8, v10, s[60:61]                    // 000000004264: D1000004 00F21508
	v_cmp_u_f32_e64 s[60:61], v25, v25                         // 00000000426C: D048003C 00023319
	v_add3_u32 v8, v25, v11, 1                                 // 000000004274: D1FF0008 02061719
	v_cndmask_b32_e64 v5, v8, v10, s[60:61]                    // 00000000427C: D1000005 00F21508
	v_perm_b32 v32, v5, v4, s35                                // 000000004284: D1ED0020 008E0905
	v_cmp_u_f32_e64 s[60:61], v26, v26                         // 00000000428C: D048003C 0002351A
	v_add3_u32 v8, v26, v11, 1                                 // 000000004294: D1FF0008 0206171A
	v_cndmask_b32_e64 v4, v8, v10, s[60:61]                    // 00000000429C: D1000004 00F21508
	v_cmp_u_f32_e64 s[60:61], v27, v27                         // 0000000042A4: D048003C 0002371B
	v_add3_u32 v8, v27, v11, 1                                 // 0000000042AC: D1FF0008 0206171B
	v_cndmask_b32_e64 v5, v8, v10, s[60:61]                    // 0000000042B4: D1000005 00F21508
	v_perm_b32 v33, v5, v4, s35                                // 0000000042BC: D1ED0021 008E0905
	v_cmp_u_f32_e64 s[60:61], v28, v28                         // 0000000042C4: D048003C 0002391C
	v_add3_u32 v8, v28, v11, 1                                 // 0000000042CC: D1FF0008 0206171C
	v_cndmask_b32_e64 v4, v8, v10, s[60:61]                    // 0000000042D4: D1000004 00F21508
	v_cmp_u_f32_e64 s[60:61], v29, v29                         // 0000000042DC: D048003C 00023B1D
	v_add3_u32 v8, v29, v11, 1                                 // 0000000042E4: D1FF0008 0206171D
	v_cndmask_b32_e64 v5, v8, v10, s[60:61]                    // 0000000042EC: D1000005 00F21508
	v_perm_b32 v34, v5, v4, s35                                // 0000000042F4: D1ED0022 008E0905
	v_cmp_u_f32_e64 s[60:61], v30, v30                         // 0000000042FC: D048003C 00023D1E
	v_add3_u32 v8, v30, v11, 1                                 // 000000004304: D1FF0008 0206171E
	v_cndmask_b32_e64 v4, v8, v10, s[60:61]                    // 00000000430C: D1000004 00F21508
	v_cmp_u_f32_e64 s[60:61], v31, v31                         // 000000004314: D048003C 00023F1F
	v_add3_u32 v8, v31, v11, 1                                 // 00000000431C: D1FF0008 0206171F
	v_cndmask_b32_e64 v5, v8, v10, s[60:61]                    // 000000004324: D1000005 00F21508
	v_perm_b32 v35, v5, v4, s35                                // 00000000432C: D1ED0023 008E0905
	ds_write_b64 v19, v[32:33]                                 // 000000004334: D89A0000 00002013
	ds_write_b64 v19, v[34:35] offset:2176                     // 00000000433C: D89A0880 00002213
	s_waitcnt lgkmcnt(0)                                       // 000000004344: BF8CC07F
	s_barrier                                                  // 000000004348: BF8A0000
	ds_read_b32 v32, v22                                       // 00000000434C: D86C0000 20000016
	ds_read_b32 v33, v22 offset:64                             // 000000004354: D86C0040 21000016
	ds_read_b32 v34, v22 offset:2176                           // 00000000435C: D86C0880 22000016
	ds_read_b32 v35, v22 offset:2240                           // 000000004364: D86C08C0 23000016
	s_waitcnt lgkmcnt(0)                                       // 00000000436C: BF8CC07F
	s_cmp_eq_u32 s24, 0                                        // 000000004370: BF068018
	s_cbranch_scc0 label_0664                                  // 000000004374: BF840006
	s_mov_b32 s31, 0                                           // 000000004378: BE9F0080

000000000000437c <label_065F>:
	s_load_dword s32, s[40:41], s62 glc                        // 00000000437C: C0010814 0000003E
	s_waitcnt lgkmcnt(0)                                       // 000000004384: BF8CC07F
	s_cmp_gt_u32 s32, s31                                      // 000000004388: BF081F20
	s_cbranch_scc0 label_065F                                  // 00000000438C: BF84FFFB

0000000000004390 <label_0664>:
	s_barrier                                                  // 000000004390: BF8A0000
	s_mul_i32 s31, s30, 8                                      // 000000004394: 921F881E
	v_mov_b32_e32 v4, v14                                      // 000000004398: 7E08030E
	s_cmp_lt_i32 s33, s55                                      // 00000000439C: BF043721
	s_cbranch_scc0 label_06BB                                  // 0000000043A0: BF840052
	s_mov_b32 s58, -1                                          // 0000000043A4: BEBA00C1
	s_mov_b32 s59, 0                                           // 0000000043A8: BEBB0080
	s_mov_b64 exec, s[58:59]                                   // 0000000043AC: BEFE013A
	global_atomic_pk_add_bf16 v4, v32, s[16:17]                // 0000000043B0: DD488000 00102004
	s_addk_i32 s33, 0x1                                        // 0000000043B8: B7210001
	s_cmp_lt_i32 s33, s55                                      // 0000000043BC: BF043721
	s_cbranch_scc0 label_06BB                                  // 0000000043C0: BF84004A
	s_mov_b32 s58, 0                                           // 0000000043C4: BEBA0080
	s_mov_b32 s59, -1                                          // 0000000043C8: BEBB00C1
	s_mov_b64 exec, s[58:59]                                   // 0000000043CC: BEFE013A
	global_atomic_pk_add_bf16 v4, v32, s[16:17]                // 0000000043D0: DD488000 00102004
	s_addk_i32 s33, 0x1                                        // 0000000043D8: B7210001
	s_mov_b32 s58, -1                                          // 0000000043DC: BEBA00C1
	s_mov_b32 s59, -1                                          // 0000000043E0: BEBB00C1
	s_mov_b64 exec, s[58:59]                                   // 0000000043E4: BEFE013A
	v_add_u32_e64 v4, v4, s31                                  // 0000000043E8: D1340004 00003F04
	s_cmp_lt_i32 s33, s55                                      // 0000000043F0: BF043721
	s_cbranch_scc0 label_06BB                                  // 0000000043F4: BF84003D
	s_mov_b32 s58, -1                                          // 0000000043F8: BEBA00C1
	s_mov_b32 s59, 0                                           // 0000000043FC: BEBB0080
	s_mov_b64 exec, s[58:59]                                   // 000000004400: BEFE013A
	global_atomic_pk_add_bf16 v4, v33, s[16:17]                // 000000004404: DD488000 00102104
	s_addk_i32 s33, 0x1                                        // 00000000440C: B7210001
	s_cmp_lt_i32 s33, s55                                      // 000000004410: BF043721
	s_cbranch_scc0 label_06BB                                  // 000000004414: BF840035
	s_mov_b32 s58, 0                                           // 000000004418: BEBA0080
	s_mov_b32 s59, -1                                          // 00000000441C: BEBB00C1
	s_mov_b64 exec, s[58:59]                                   // 000000004420: BEFE013A
	global_atomic_pk_add_bf16 v4, v33, s[16:17]                // 000000004424: DD488000 00102104
	s_addk_i32 s33, 0x1                                        // 00000000442C: B7210001
	s_mov_b32 s58, -1                                          // 000000004430: BEBA00C1
	s_mov_b32 s59, -1                                          // 000000004434: BEBB00C1
	s_mov_b64 exec, s[58:59]                                   // 000000004438: BEFE013A
	v_add_u32_e64 v4, v4, s31                                  // 00000000443C: D1340004 00003F04
	s_cmp_lt_i32 s33, s55                                      // 000000004444: BF043721
	s_cbranch_scc0 label_06BB                                  // 000000004448: BF840028
	s_mov_b32 s58, -1                                          // 00000000444C: BEBA00C1
	s_mov_b32 s59, 0                                           // 000000004450: BEBB0080
	s_mov_b64 exec, s[58:59]                                   // 000000004454: BEFE013A
	global_atomic_pk_add_bf16 v4, v34, s[16:17]                // 000000004458: DD488000 00102204
	s_addk_i32 s33, 0x1                                        // 000000004460: B7210001
	s_cmp_lt_i32 s33, s55                                      // 000000004464: BF043721
	s_cbranch_scc0 label_06BB                                  // 000000004468: BF840020
	s_mov_b32 s58, 0                                           // 00000000446C: BEBA0080
	s_mov_b32 s59, -1                                          // 000000004470: BEBB00C1
	s_mov_b64 exec, s[58:59]                                   // 000000004474: BEFE013A
	global_atomic_pk_add_bf16 v4, v34, s[16:17]                // 000000004478: DD488000 00102204
	s_addk_i32 s33, 0x1                                        // 000000004480: B7210001
	s_mov_b32 s58, -1                                          // 000000004484: BEBA00C1
	s_mov_b32 s59, -1                                          // 000000004488: BEBB00C1
	s_mov_b64 exec, s[58:59]                                   // 00000000448C: BEFE013A
	v_add_u32_e64 v4, v4, s31                                  // 000000004490: D1340004 00003F04
	s_cmp_lt_i32 s33, s55                                      // 000000004498: BF043721
	s_cbranch_scc0 label_06BB                                  // 00000000449C: BF840013
	s_mov_b32 s58, -1                                          // 0000000044A0: BEBA00C1
	s_mov_b32 s59, 0                                           // 0000000044A4: BEBB0080
	s_mov_b64 exec, s[58:59]                                   // 0000000044A8: BEFE013A
	global_atomic_pk_add_bf16 v4, v35, s[16:17]                // 0000000044AC: DD488000 00102304
	s_addk_i32 s33, 0x1                                        // 0000000044B4: B7210001
	s_cmp_lt_i32 s33, s55                                      // 0000000044B8: BF043721
	s_cbranch_scc0 label_06BB                                  // 0000000044BC: BF84000B
	s_mov_b32 s58, 0                                           // 0000000044C0: BEBA0080
	s_mov_b32 s59, -1                                          // 0000000044C4: BEBB00C1
	s_mov_b64 exec, s[58:59]                                   // 0000000044C8: BEFE013A
	global_atomic_pk_add_bf16 v4, v35, s[16:17]                // 0000000044CC: DD488000 00102304
	s_addk_i32 s33, 0x1                                        // 0000000044D4: B7210001
	s_mov_b32 s58, -1                                          // 0000000044D8: BEBA00C1
	s_mov_b32 s59, -1                                          // 0000000044DC: BEBB00C1
	s_mov_b64 exec, s[58:59]                                   // 0000000044E0: BEFE013A
	v_add_u32_e64 v4, v4, s31                                  // 0000000044E4: D1340004 00003F04

00000000000044ec <label_06BB>:
	s_barrier                                                  // 0000000044EC: BF8A0000
	s_cmp_eq_u32 s24, 0                                        // 0000000044F0: BF068018
	s_cbranch_scc0 label_0704                                  // 0000000044F4: BF840046
	s_atomic_dec s52, s[40:41], s62                            // 0000000044F8: C2300D14 0000003E
	s_branch label_0704                                        // 000000004500: BF820043

0000000000004504 <label_06C1>:
	s_cmp_lt_u32 s54, 1                                        // 000000004504: BF0A8136
	s_cbranch_scc0 label_06C8                                  // 000000004508: BF840005
	buffer_store_dwordx4 v[24:27], v12, s[16:19], 0 offen      // 00000000450C: E07C1000 8004180C
	buffer_store_dwordx4 v[28:31], v13, s[16:19], 0 offen      // 000000004514: E07C1000 80041C0D
	s_branch label_0704                                        // 00000000451C: BF82003C

0000000000004520 <label_06C8>:
	v_cmp_u_f32_e64 s[60:61], v24, v24                         // 000000004520: D048003C 00023118
	v_add3_u32 v8, v24, v11, 1                                 // 000000004528: D1FF0008 02061718
	v_cndmask_b32_e64 v4, v8, v10, s[60:61]                    // 000000004530: D1000004 00F21508
	v_cmp_u_f32_e64 s[60:61], v25, v25                         // 000000004538: D048003C 00023319
	v_add3_u32 v8, v25, v11, 1                                 // 000000004540: D1FF0008 02061719
	v_cndmask_b32_e64 v5, v8, v10, s[60:61]                    // 000000004548: D1000005 00F21508
	v_perm_b32 v32, v5, v4, s35                                // 000000004550: D1ED0020 008E0905
	v_cmp_u_f32_e64 s[60:61], v26, v26                         // 000000004558: D048003C 0002351A
	v_add3_u32 v8, v26, v11, 1                                 // 000000004560: D1FF0008 0206171A
	v_cndmask_b32_e64 v4, v8, v10, s[60:61]                    // 000000004568: D1000004 00F21508
	v_cmp_u_f32_e64 s[60:61], v27, v27                         // 000000004570: D048003C 0002371B
	v_add3_u32 v8, v27, v11, 1                                 // 000000004578: D1FF0008 0206171B
	v_cndmask_b32_e64 v5, v8, v10, s[60:61]                    // 000000004580: D1000005 00F21508
	v_perm_b32 v33, v5, v4, s35                                // 000000004588: D1ED0021 008E0905
	buffer_store_dwordx2 v[32:33], v12, s[16:19], 0 offen      // 000000004590: E0741000 8004200C
	v_cmp_u_f32_e64 s[60:61], v28, v28                         // 000000004598: D048003C 0002391C
	v_add3_u32 v8, v28, v11, 1                                 // 0000000045A0: D1FF0008 0206171C
	v_cndmask_b32_e64 v4, v8, v10, s[60:61]                    // 0000000045A8: D1000004 00F21508
	v_cmp_u_f32_e64 s[60:61], v29, v29                         // 0000000045B0: D048003C 00023B1D
	v_add3_u32 v8, v29, v11, 1                                 // 0000000045B8: D1FF0008 0206171D
	v_cndmask_b32_e64 v5, v8, v10, s[60:61]                    // 0000000045C0: D1000005 00F21508
	v_perm_b32 v34, v5, v4, s35                                // 0000000045C8: D1ED0022 008E0905
	v_cmp_u_f32_e64 s[60:61], v30, v30                         // 0000000045D0: D048003C 00023D1E
	v_add3_u32 v8, v30, v11, 1                                 // 0000000045D8: D1FF0008 0206171E
	v_cndmask_b32_e64 v4, v8, v10, s[60:61]                    // 0000000045E0: D1000004 00F21508
	v_cmp_u_f32_e64 s[60:61], v31, v31                         // 0000000045E8: D048003C 00023F1F
	v_add3_u32 v8, v31, v11, 1                                 // 0000000045F0: D1FF0008 0206171F
	v_cndmask_b32_e64 v5, v8, v10, s[60:61]                    // 0000000045F8: D1000005 00F21508
	v_perm_b32 v35, v5, v4, s35                                // 000000004600: D1ED0023 008E0905
	buffer_store_dwordx2 v[34:35], v13, s[16:19], 0 offen      // 000000004608: E0741000 8004220D

0000000000004610 <label_0704>:
	s_waitcnt vmcnt(0) expcnt(0) lgkmcnt(0)                    // 000000004610: BF8C0000
	s_endpgm                                                   // 000000004614: BF810000
